;; amdgpu-corpus repo=ROCm/rocFFT kind=compiled arch=gfx906 opt=O3
	.text
	.amdgcn_target "amdgcn-amd-amdhsa--gfx906"
	.amdhsa_code_object_version 6
	.protected	bluestein_single_back_len1664_dim1_half_op_CI_CI ; -- Begin function bluestein_single_back_len1664_dim1_half_op_CI_CI
	.globl	bluestein_single_back_len1664_dim1_half_op_CI_CI
	.p2align	8
	.type	bluestein_single_back_len1664_dim1_half_op_CI_CI,@function
bluestein_single_back_len1664_dim1_half_op_CI_CI: ; @bluestein_single_back_len1664_dim1_half_op_CI_CI
; %bb.0:
	s_load_dwordx4 s[0:3], s[4:5], 0x28
	v_mul_u32_u24_e32 v1, 0x13c, v0
	v_add_u32_sdwa v6, s6, v1 dst_sel:DWORD dst_unused:UNUSED_PAD src0_sel:DWORD src1_sel:WORD_1
	v_mov_b32_e32 v7, 0
	s_waitcnt lgkmcnt(0)
	v_cmp_gt_u64_e32 vcc, s[0:1], v[6:7]
	s_and_saveexec_b64 s[0:1], vcc
	s_cbranch_execz .LBB0_15
; %bb.1:
	s_load_dwordx2 s[6:7], s[4:5], 0x0
	s_load_dwordx2 s[12:13], s[4:5], 0x38
	s_movk_i32 s0, 0xd0
	v_mul_lo_u16_sdwa v1, v1, s0 dst_sel:DWORD dst_unused:UNUSED_PAD src0_sel:WORD_1 src1_sel:DWORD
	v_sub_u16_e32 v20, v0, v1
	s_movk_i32 s0, 0x80
	v_cmp_gt_u16_e64 s[0:1], s0, v20
	v_lshlrev_b32_e32 v19, 2, v20
	s_and_saveexec_b64 s[14:15], s[0:1]
	s_cbranch_execz .LBB0_3
; %bb.2:
	s_load_dwordx2 s[8:9], s[4:5], 0x18
	v_or_b32_e32 v11, 0x80, v20
	v_mov_b32_e32 v10, s3
	v_or_b32_e32 v13, 0x200, v20
	v_or_b32_e32 v15, 0x280, v20
	s_waitcnt lgkmcnt(0)
	s_load_dwordx4 s[8:11], s[8:9], 0x0
	v_or_b32_e32 v17, 0x300, v20
	v_or_b32_e32 v21, 0x380, v20
	;; [unrolled: 1-line block ×3, first 2 shown]
	s_waitcnt lgkmcnt(0)
	v_mad_u64_u32 v[0:1], s[16:17], s10, v6, 0
	v_mad_u64_u32 v[2:3], s[16:17], s8, v20, 0
	;; [unrolled: 1-line block ×3, first 2 shown]
	v_or_b32_e32 v5, 0x100, v20
	v_mad_u64_u32 v[7:8], s[10:11], s9, v20, v[3:4]
	v_mad_u64_u32 v[8:9], s[10:11], s8, v11, 0
	v_mov_b32_e32 v1, v4
	v_lshlrev_b64 v[0:1], 2, v[0:1]
	v_mov_b32_e32 v3, v7
	v_add_co_u32_e32 v25, vcc, s2, v0
	v_addc_co_u32_e32 v26, vcc, v10, v1, vcc
	v_lshlrev_b64 v[0:1], 2, v[2:3]
	v_mov_b32_e32 v2, v9
	v_mad_u64_u32 v[2:3], s[2:3], s9, v11, v[2:3]
	v_mad_u64_u32 v[3:4], s[2:3], s8, v5, 0
	v_mov_b32_e32 v9, v2
	v_lshlrev_b64 v[7:8], 2, v[8:9]
	v_mov_b32_e32 v2, v4
	v_mad_u64_u32 v[4:5], s[2:3], s9, v5, v[2:3]
	v_or_b32_e32 v5, 0x180, v20
	v_mad_u64_u32 v[9:10], s[2:3], s8, v5, 0
	v_lshlrev_b64 v[2:3], 2, v[3:4]
	v_mad_u64_u32 v[11:12], s[2:3], s8, v13, 0
	v_mov_b32_e32 v4, v10
	v_mad_u64_u32 v[4:5], s[2:3], s9, v5, v[4:5]
	v_add_co_u32_e32 v0, vcc, v25, v0
	v_mov_b32_e32 v10, v4
	v_lshlrev_b64 v[4:5], 2, v[9:10]
	v_mov_b32_e32 v9, v12
	v_mad_u64_u32 v[9:10], s[2:3], s9, v13, v[9:10]
	v_mad_u64_u32 v[13:14], s[2:3], s8, v15, 0
	v_mov_b32_e32 v12, v9
	v_lshlrev_b64 v[9:10], 2, v[11:12]
	v_mov_b32_e32 v11, v14
	v_mad_u64_u32 v[11:12], s[2:3], s9, v15, v[11:12]
	v_mad_u64_u32 v[15:16], s[2:3], s8, v17, 0
	;; [unrolled: 5-line block ×3, first 2 shown]
	v_mov_b32_e32 v16, v13
	v_addc_co_u32_e32 v1, vcc, v26, v1, vcc
	v_lshlrev_b64 v[13:14], 2, v[15:16]
	v_mov_b32_e32 v15, v18
	v_add_co_u32_e32 v7, vcc, v25, v7
	v_mad_u64_u32 v[15:16], s[2:3], s9, v21, v[15:16]
	v_addc_co_u32_e32 v8, vcc, v26, v8, vcc
	v_mad_u64_u32 v[21:22], s[2:3], s8, v27, 0
	v_add_co_u32_e32 v2, vcc, v25, v2
	v_addc_co_u32_e32 v3, vcc, v26, v3, vcc
	v_add_co_u32_e32 v4, vcc, v25, v4
	v_mov_b32_e32 v18, v15
	v_addc_co_u32_e32 v5, vcc, v26, v5, vcc
	v_lshlrev_b64 v[15:16], 2, v[17:18]
	v_mov_b32_e32 v17, v22
	v_add_co_u32_e32 v9, vcc, v25, v9
	v_mad_u64_u32 v[17:18], s[2:3], s9, v27, v[17:18]
	v_addc_co_u32_e32 v10, vcc, v26, v10, vcc
	v_or_b32_e32 v18, 0x480, v20
	v_add_co_u32_e32 v11, vcc, v25, v11
	v_mad_u64_u32 v[23:24], s[2:3], s8, v18, 0
	v_addc_co_u32_e32 v12, vcc, v26, v12, vcc
	global_load_dword v28, v[0:1], off
	global_load_dword v29, v19, s[6:7] offset:1024
	global_load_dword v30, v19, s[6:7] offset:1536
	;; [unrolled: 1-line block ×6, first 2 shown]
	global_load_dword v35, v19, s[6:7]
	global_load_dword v36, v[7:8], off
	v_add_co_u32_e32 v13, vcc, v25, v13
	v_addc_co_u32_e32 v14, vcc, v26, v14, vcc
	v_add_co_u32_e32 v0, vcc, v25, v15
	v_mov_b32_e32 v22, v17
	v_mov_b32_e32 v15, v24
	v_or_b32_e32 v17, 0x500, v20
	v_addc_co_u32_e32 v1, vcc, v26, v16, vcc
	v_lshlrev_b64 v[7:8], 2, v[21:22]
	v_mad_u64_u32 v[15:16], s[2:3], s9, v18, v[15:16]
	global_load_dword v21, v[2:3], off
	global_load_dword v22, v[4:5], off
	v_mov_b32_e32 v24, v15
	global_load_dword v12, v[11:12], off
	v_mad_u64_u32 v[2:3], s[2:3], s8, v17, 0
	v_add_co_u32_e32 v4, vcc, v25, v7
	v_mad_u64_u32 v[15:16], s[2:3], s9, v17, v[3:4]
	global_load_dword v16, v[9:10], off
	v_addc_co_u32_e32 v5, vcc, v26, v8, vcc
	global_load_dword v13, v[13:14], off
	v_lshlrev_b64 v[7:8], 2, v[23:24]
	v_or_b32_e32 v23, 0x580, v20
	v_mad_u64_u32 v[9:10], s[2:3], s8, v23, 0
	v_add_co_u32_e32 v7, vcc, v25, v7
	v_mad_u64_u32 v[10:11], s[2:3], s9, v23, v[10:11]
	global_load_dword v11, v[0:1], off
	global_load_dword v14, v19, s[6:7] offset:3584
	global_load_dword v24, v[4:5], off
	v_lshlrev_b32_e32 v4, 2, v27
	global_load_dword v27, v4, s[6:7]
	v_addc_co_u32_e32 v8, vcc, v26, v8, vcc
	v_mov_b32_e32 v3, v15
	v_or_b32_e32 v15, 0x600, v20
	v_mad_u64_u32 v[0:1], s[2:3], s8, v15, 0
	v_lshlrev_b64 v[4:5], 2, v[9:10]
	global_load_dword v9, v[7:8], off
	v_lshlrev_b32_e32 v7, 2, v18
	v_lshlrev_b64 v[2:3], 2, v[2:3]
	global_load_dword v10, v7, s[6:7]
	v_add_co_u32_e32 v2, vcc, v25, v2
	v_addc_co_u32_e32 v3, vcc, v26, v3, vcc
	v_mad_u64_u32 v[7:8], s[2:3], s9, v15, v[1:2]
	global_load_dword v8, v[2:3], off
	v_lshlrev_b32_e32 v1, 2, v17
	global_load_dword v17, v1, s[6:7]
	v_add_co_u32_e32 v2, vcc, v25, v4
	v_addc_co_u32_e32 v3, vcc, v26, v5, vcc
	global_load_dword v2, v[2:3], off
	v_lshlrev_b32_e32 v3, 2, v23
	global_load_dword v3, v3, s[6:7]
	v_mov_b32_e32 v1, v7
	v_lshlrev_b64 v[0:1], 2, v[0:1]
	v_lshlrev_b32_e32 v4, 2, v15
	v_add_co_u32_e32 v0, vcc, v25, v0
	v_addc_co_u32_e32 v1, vcc, v26, v1, vcc
	global_load_dword v5, v[0:1], off
	global_load_dword v7, v4, s[6:7]
	s_waitcnt vmcnt(25)
	v_lshrrev_b32_e32 v0, 16, v28
	s_waitcnt vmcnt(18)
	v_mul_f16_sdwa v4, v35, v28 dst_sel:DWORD dst_unused:UNUSED_PAD src0_sel:WORD_1 src1_sel:DWORD
	v_mul_f16_sdwa v1, v35, v0 dst_sel:DWORD dst_unused:UNUSED_PAD src0_sel:WORD_1 src1_sel:DWORD
	v_fma_f16 v0, v35, v0, -v4
	s_waitcnt vmcnt(17)
	v_lshrrev_b32_e32 v4, 16, v36
	v_mul_f16_sdwa v15, v34, v4 dst_sel:DWORD dst_unused:UNUSED_PAD src0_sel:WORD_1 src1_sel:DWORD
	v_mul_f16_sdwa v18, v34, v36 dst_sel:DWORD dst_unused:UNUSED_PAD src0_sel:WORD_1 src1_sel:DWORD
	v_fma_f16 v1, v35, v28, v1
	v_fma_f16 v15, v34, v36, v15
	v_fma_f16 v4, v34, v4, -v18
	v_pack_b32_f16 v0, v1, v0
	v_pack_b32_f16 v1, v15, v4
	ds_write2st64_b32 v19, v0, v1 offset1:2
	s_waitcnt vmcnt(16)
	v_lshrrev_b32_e32 v0, 16, v21
	v_mul_f16_sdwa v4, v29, v21 dst_sel:DWORD dst_unused:UNUSED_PAD src0_sel:WORD_1 src1_sel:DWORD
	v_mul_f16_sdwa v1, v29, v0 dst_sel:DWORD dst_unused:UNUSED_PAD src0_sel:WORD_1 src1_sel:DWORD
	v_fma_f16 v0, v29, v0, -v4
	s_waitcnt vmcnt(15)
	v_lshrrev_b32_e32 v4, 16, v22
	v_mul_f16_sdwa v15, v30, v4 dst_sel:DWORD dst_unused:UNUSED_PAD src0_sel:WORD_1 src1_sel:DWORD
	v_mul_f16_sdwa v18, v30, v22 dst_sel:DWORD dst_unused:UNUSED_PAD src0_sel:WORD_1 src1_sel:DWORD
	v_fma_f16 v1, v29, v21, v1
	v_fma_f16 v15, v30, v22, v15
	v_fma_f16 v4, v30, v4, -v18
	v_pack_b32_f16 v0, v1, v0
	v_pack_b32_f16 v1, v15, v4
	ds_write2st64_b32 v19, v0, v1 offset0:4 offset1:6
	s_waitcnt vmcnt(13)
	v_lshrrev_b32_e32 v0, 16, v16
	v_mul_f16_sdwa v1, v31, v0 dst_sel:DWORD dst_unused:UNUSED_PAD src0_sel:WORD_1 src1_sel:DWORD
	v_mul_f16_sdwa v4, v31, v16 dst_sel:DWORD dst_unused:UNUSED_PAD src0_sel:WORD_1 src1_sel:DWORD
	v_fma_f16 v1, v31, v16, v1
	v_fma_f16 v0, v31, v0, -v4
	v_pack_b32_f16 v0, v1, v0
	v_lshrrev_b32_e32 v1, 16, v12
	v_mul_f16_sdwa v4, v32, v1 dst_sel:DWORD dst_unused:UNUSED_PAD src0_sel:WORD_1 src1_sel:DWORD
	v_fma_f16 v4, v32, v12, v4
	v_mul_f16_sdwa v12, v32, v12 dst_sel:DWORD dst_unused:UNUSED_PAD src0_sel:WORD_1 src1_sel:DWORD
	v_fma_f16 v1, v32, v1, -v12
	v_pack_b32_f16 v1, v4, v1
	ds_write2st64_b32 v19, v0, v1 offset0:8 offset1:10
	s_waitcnt vmcnt(12)
	v_lshrrev_b32_e32 v0, 16, v13
	v_mul_f16_sdwa v1, v33, v0 dst_sel:DWORD dst_unused:UNUSED_PAD src0_sel:WORD_1 src1_sel:DWORD
	v_mul_f16_sdwa v4, v33, v13 dst_sel:DWORD dst_unused:UNUSED_PAD src0_sel:WORD_1 src1_sel:DWORD
	v_fma_f16 v1, v33, v13, v1
	v_fma_f16 v0, v33, v0, -v4
	v_pack_b32_f16 v0, v1, v0
	s_waitcnt vmcnt(11)
	v_lshrrev_b32_e32 v1, 16, v11
	s_waitcnt vmcnt(10)
	v_mul_f16_sdwa v4, v14, v1 dst_sel:DWORD dst_unused:UNUSED_PAD src0_sel:WORD_1 src1_sel:DWORD
	v_fma_f16 v4, v14, v11, v4
	v_mul_f16_sdwa v11, v14, v11 dst_sel:DWORD dst_unused:UNUSED_PAD src0_sel:WORD_1 src1_sel:DWORD
	v_fma_f16 v1, v14, v1, -v11
	v_pack_b32_f16 v1, v4, v1
	ds_write2st64_b32 v19, v0, v1 offset0:12 offset1:14
	s_waitcnt vmcnt(9)
	v_lshrrev_b32_e32 v0, 16, v24
	s_waitcnt vmcnt(8)
	v_mul_f16_sdwa v1, v27, v0 dst_sel:DWORD dst_unused:UNUSED_PAD src0_sel:WORD_1 src1_sel:DWORD
	v_mul_f16_sdwa v4, v27, v24 dst_sel:DWORD dst_unused:UNUSED_PAD src0_sel:WORD_1 src1_sel:DWORD
	v_fma_f16 v1, v27, v24, v1
	v_fma_f16 v0, v27, v0, -v4
	v_pack_b32_f16 v0, v1, v0
	s_waitcnt vmcnt(7)
	v_lshrrev_b32_e32 v1, 16, v9
	s_waitcnt vmcnt(6)
	v_mul_f16_sdwa v4, v10, v1 dst_sel:DWORD dst_unused:UNUSED_PAD src0_sel:WORD_1 src1_sel:DWORD
	v_fma_f16 v4, v10, v9, v4
	v_mul_f16_sdwa v9, v10, v9 dst_sel:DWORD dst_unused:UNUSED_PAD src0_sel:WORD_1 src1_sel:DWORD
	v_fma_f16 v1, v10, v1, -v9
	v_pack_b32_f16 v1, v4, v1
	ds_write2st64_b32 v19, v0, v1 offset0:16 offset1:18
	s_waitcnt vmcnt(5)
	v_lshrrev_b32_e32 v0, 16, v8
	s_waitcnt vmcnt(4)
	;; [unrolled: 17-line block ×3, first 2 shown]
	v_mul_f16_sdwa v1, v7, v0 dst_sel:DWORD dst_unused:UNUSED_PAD src0_sel:WORD_1 src1_sel:DWORD
	v_mul_f16_sdwa v2, v7, v5 dst_sel:DWORD dst_unused:UNUSED_PAD src0_sel:WORD_1 src1_sel:DWORD
	v_fma_f16 v1, v7, v5, v1
	v_fma_f16 v0, v7, v0, -v2
	v_pack_b32_f16 v0, v1, v0
	ds_write_b32 v19, v0 offset:6144
.LBB0_3:
	s_or_b64 exec, exec, s[14:15]
	s_load_dwordx2 s[8:9], s[4:5], 0x20
	s_load_dwordx2 s[2:3], s[4:5], 0x8
	v_mov_b32_e32 v0, 0
	s_waitcnt lgkmcnt(0)
	s_barrier
	s_waitcnt lgkmcnt(0)
                                        ; implicit-def: $vgpr17
                                        ; implicit-def: $vgpr3
                                        ; implicit-def: $vgpr5
                                        ; implicit-def: $vgpr12
                                        ; implicit-def: $vgpr14
                                        ; implicit-def: $vgpr16
	s_and_saveexec_b64 s[4:5], s[0:1]
	s_cbranch_execz .LBB0_5
; %bb.4:
	ds_read2st64_b32 v[0:1], v19 offset1:2
	ds_read2st64_b32 v[15:16], v19 offset0:4 offset1:6
	ds_read2st64_b32 v[13:14], v19 offset0:8 offset1:10
	;; [unrolled: 1-line block ×5, first 2 shown]
	ds_read_b32 v17, v19 offset:6144
.LBB0_5:
	s_or_b64 exec, exec, s[4:5]
	s_waitcnt lgkmcnt(0)
	v_pk_add_f16 v21, v1, v17 neg_lo:[0,1] neg_hi:[0,1]
	s_mov_b32 s17, 0xbb7b
	v_pk_add_f16 v18, v17, v1
	s_mov_b32 s15, 0xb5ac
	v_mul_f16_sdwa v35, v21, s17 dst_sel:DWORD dst_unused:UNUSED_PAD src0_sel:WORD_1 src1_sel:DWORD
	s_mov_b32 s18, 0xb94e
	v_pk_add_f16 v30, v15, v3 neg_lo:[0,1] neg_hi:[0,1]
	s_movk_i32 s20, 0x394e
	v_fma_f16 v7, v18, s15, v35
	s_mov_b32 s16, 0xb9fd
	v_mul_f16_sdwa v39, v21, s18 dst_sel:DWORD dst_unused:UNUSED_PAD src0_sel:WORD_1 src1_sel:DWORD
	v_pk_add_f16 v29, v3, v15
	v_mul_f16_sdwa v38, v30, s20 dst_sel:DWORD dst_unused:UNUSED_PAD src0_sel:WORD_1 src1_sel:DWORD
	s_movk_i32 s20, 0x3bf1
	s_movk_i32 s11, 0x2fb7
	v_add_f16_e32 v7, v7, v0
	v_fma_f16 v8, v18, s16, v39
	v_fma_f16 v9, v29, s16, v38
	v_mul_f16_sdwa v42, v30, s20 dst_sel:DWORD dst_unused:UNUSED_PAD src0_sel:WORD_1 src1_sel:DWORD
	v_pk_add_f16 v32, v16, v2 neg_lo:[0,1] neg_hi:[0,1]
	s_movk_i32 s21, 0x3770
	s_movk_i32 s10, 0x3b15
	s_mov_b32 s4, 0xba95
	v_add_f16_e32 v8, v8, v0
	v_add_f16_e32 v7, v9, v7
	v_fma_f16 v9, v29, s11, v42
	v_pk_add_f16 v31, v2, v16
	v_mul_f16_sdwa v41, v32, s21 dst_sel:DWORD dst_unused:UNUSED_PAD src0_sel:WORD_1 src1_sel:DWORD
	s_movk_i32 s14, 0x388b
	s_mov_b32 s5, 0xbbf1
	v_add_f16_e32 v8, v9, v8
	v_fma_f16 v9, v31, s10, v41
	v_mul_f16_sdwa v45, v32, s4 dst_sel:DWORD dst_unused:UNUSED_PAD src0_sel:WORD_1 src1_sel:DWORD
	v_pk_add_f16 v34, v13, v5 neg_lo:[0,1] neg_hi:[0,1]
	v_add_f16_e32 v7, v9, v7
	v_fma_f16 v9, v31, s14, v45
	v_pk_add_f16 v33, v5, v13
	v_mul_f16_sdwa v44, v34, s5 dst_sel:DWORD dst_unused:UNUSED_PAD src0_sel:WORD_1 src1_sel:DWORD
	s_movk_i32 s22, 0x33a8
	s_mov_b32 s19, 0xbbc4
	v_add_f16_e32 v8, v9, v8
	v_fma_f16 v9, v33, s11, v44
	v_mul_f16_sdwa v47, v34, s22 dst_sel:DWORD dst_unused:UNUSED_PAD src0_sel:WORD_1 src1_sel:DWORD
	v_pk_add_f16 v37, v14, v4 neg_lo:[0,1] neg_hi:[0,1]
	v_add_f16_e32 v7, v9, v7
	v_fma_f16 v9, v33, s19, v47
	v_pk_add_f16 v36, v4, v14
	v_mul_f16_sdwa v46, v37, s22 dst_sel:DWORD dst_unused:UNUSED_PAD src0_sel:WORD_1 src1_sel:DWORD
	v_add_f16_e32 v8, v9, v8
	v_fma_f16 v9, v36, s19, v46
	v_mul_f16_sdwa v50, v37, s21 dst_sel:DWORD dst_unused:UNUSED_PAD src0_sel:WORD_1 src1_sel:DWORD
	s_movk_i32 s22, 0x3a95
	v_pk_add_f16 v43, v11, v12 neg_lo:[0,1] neg_hi:[0,1]
	v_add_f16_e32 v7, v9, v7
	v_fma_f16 v9, v36, s10, v50
	v_pk_add_f16 v40, v12, v11
	v_mul_f16_sdwa v53, v43, s22 dst_sel:DWORD dst_unused:UNUSED_PAD src0_sel:WORD_1 src1_sel:DWORD
	v_add_f16_e32 v9, v9, v8
	v_fma_f16 v8, v40, s14, v53
	v_mul_f16_sdwa v61, v43, s17 dst_sel:DWORD dst_unused:UNUSED_PAD src0_sel:WORD_1 src1_sel:DWORD
	s_mov_b32 s23, 0xb770
	v_add_f16_e32 v8, v8, v7
	v_fma_f16 v7, v40, s15, v61
	v_mul_f16_sdwa v48, v21, s23 dst_sel:DWORD dst_unused:UNUSED_PAD src0_sel:WORD_1 src1_sel:DWORD
	v_add_f16_e32 v7, v7, v9
	v_fma_f16 v9, v18, s10, v48
	v_mul_f16_sdwa v49, v30, s4 dst_sel:DWORD dst_unused:UNUSED_PAD src0_sel:WORD_1 src1_sel:DWORD
	v_add_f16_e32 v9, v9, v0
	v_fma_f16 v10, v29, s14, v49
	v_lshrrev_b32_e32 v94, 16, v18
	v_mul_f16_e32 v51, 0xba95, v21
	v_add_f16_e32 v9, v10, v9
	v_fma_f16 v10, v94, s14, -v51
	v_lshrrev_b32_e32 v93, 16, v29
	v_mul_f16_e32 v52, 0xbb7b, v30
	v_add_f16_sdwa v10, v10, v0 dst_sel:DWORD dst_unused:UNUSED_PAD src0_sel:DWORD src1_sel:WORD_1
	v_fma_f16 v22, v93, s15, -v52
	v_mul_f16_sdwa v55, v21, s5 dst_sel:DWORD dst_unused:UNUSED_PAD src0_sel:WORD_1 src1_sel:DWORD
	s_mov_b32 s23, 0xb3a8
	v_add_f16_e32 v10, v22, v10
	v_fma_f16 v22, v18, s11, v55
	v_mul_f16_sdwa v56, v30, s23 dst_sel:DWORD dst_unused:UNUSED_PAD src0_sel:WORD_1 src1_sel:DWORD
	v_add_f16_e32 v22, v22, v0
	v_fma_f16 v23, v29, s19, v56
	v_mul_f16_e32 v59, 0xbbf1, v21
	v_add_f16_e32 v22, v23, v22
	v_fma_f16 v23, v94, s11, -v59
	v_mul_f16_e32 v60, 0xb3a8, v30
	v_add_f16_sdwa v23, v23, v0 dst_sel:DWORD dst_unused:UNUSED_PAD src0_sel:DWORD src1_sel:WORD_1
	v_fma_f16 v24, v93, s19, -v60
	v_mul_f16_e32 v69, 0xbb7b, v21
	v_add_f16_e32 v23, v24, v23
	v_fma_f16 v24, v94, s15, -v69
	v_mul_f16_e32 v70, 0x394e, v30
	v_add_f16_sdwa v24, v24, v0 dst_sel:DWORD dst_unused:UNUSED_PAD src0_sel:DWORD src1_sel:WORD_1
	v_fma_f16 v25, v93, s16, -v70
	;; [unrolled: 6-line block ×3, first 2 shown]
	v_mul_f16_sdwa v54, v32, s5 dst_sel:DWORD dst_unused:UNUSED_PAD src0_sel:WORD_1 src1_sel:DWORD
	v_add_f16_e32 v25, v26, v25
	v_fma_f16 v26, v31, s11, v54
	v_lshrrev_b32_e32 v100, 16, v31
	v_mul_f16_e32 v58, 0xb3a8, v32
	s_movk_i32 s5, 0x3b7b
	v_add_f16_e32 v9, v26, v9
	v_fma_f16 v26, v100, s19, -v58
	v_mul_f16_sdwa v63, v32, s5 dst_sel:DWORD dst_unused:UNUSED_PAD src0_sel:WORD_1 src1_sel:DWORD
	v_add_f16_e32 v10, v26, v10
	v_fma_f16 v26, v31, s15, v63
	v_mul_f16_e32 v66, 0x3b7b, v32
	v_add_f16_e32 v22, v26, v22
	v_fma_f16 v26, v100, s15, -v66
	v_mul_f16_e32 v73, 0x3770, v32
	v_add_f16_e32 v23, v26, v23
	v_fma_f16 v26, v100, s10, -v73
	;; [unrolled: 3-line block ×3, first 2 shown]
	v_mul_f16_sdwa v57, v34, s17 dst_sel:DWORD dst_unused:UNUSED_PAD src0_sel:WORD_1 src1_sel:DWORD
	v_add_f16_e32 v25, v26, v25
	v_fma_f16 v26, v33, s15, v57
	v_lshrrev_b32_e32 v96, 16, v33
	v_mul_f16_e32 v64, 0x394e, v34
	v_add_f16_e32 v9, v26, v9
	v_fma_f16 v26, v96, s16, -v64
	v_mul_f16_sdwa v67, v34, s21 dst_sel:DWORD dst_unused:UNUSED_PAD src0_sel:WORD_1 src1_sel:DWORD
	v_add_f16_e32 v10, v26, v10
	v_fma_f16 v26, v33, s10, v67
	v_mul_f16_e32 v71, 0x3770, v34
	v_add_f16_e32 v22, v26, v22
	v_fma_f16 v26, v96, s10, -v71
	v_mul_f16_e32 v81, 0xbbf1, v34
	v_add_f16_e32 v23, v26, v23
	v_fma_f16 v26, v96, s11, -v81
	;; [unrolled: 3-line block ×3, first 2 shown]
	v_mul_f16_sdwa v62, v37, s18 dst_sel:DWORD dst_unused:UNUSED_PAD src0_sel:WORD_1 src1_sel:DWORD
	v_add_f16_e32 v25, v26, v25
	v_fma_f16 v26, v36, s16, v62
	v_lshrrev_b32_e32 v97, 16, v36
	v_mul_f16_e32 v68, 0x3bf1, v37
	v_add_f16_e32 v9, v26, v9
	v_fma_f16 v26, v97, s11, -v68
	v_mul_f16_sdwa v72, v37, s4 dst_sel:DWORD dst_unused:UNUSED_PAD src0_sel:WORD_1 src1_sel:DWORD
	v_add_f16_e32 v26, v26, v10
	v_fma_f16 v10, v36, s14, v72
	v_mul_f16_e32 v77, 0xba95, v37
	v_add_f16_e32 v10, v10, v22
	v_fma_f16 v22, v97, s14, -v77
	v_mul_f16_e32 v86, 0x33a8, v37
	v_add_f16_e32 v22, v22, v23
	v_fma_f16 v23, v97, s19, -v86
	v_mul_f16_e32 v101, 0x3770, v37
	s_mov_b32 s4, 0x3b15388b
	v_add_f16_e32 v27, v23, v24
	v_fma_f16 v23, v97, s10, -v101
	v_mul_f16_sdwa v65, v43, s23 dst_sel:DWORD dst_unused:UNUSED_PAD src0_sel:WORD_1 src1_sel:DWORD
	s_mov_b32 s5, 0xba95b770
	s_mov_b32 s24, 0x388bb5ac
	v_pk_mul_f16 v87, v18, s4
	v_add_f16_e32 v28, v23, v25
	v_fma_f16 v23, v40, s19, v65
	s_mov_b32 s25, 0xbb7bba95
	s_mov_b32 s26, 0x2fb7bbc4
	v_pk_fma_f16 v74, v21, s5, v87 op_sel:[0,0,1] op_sel_hi:[1,1,0]
	v_pk_mul_f16 v88, v29, s24
	v_add_f16_e32 v23, v23, v9
	s_mov_b32 s27, 0xb3a8bbf1
	s_mov_b32 s28, 0xb5acb9fd
	v_pk_fma_f16 v75, v30, s25, v88 op_sel:[0,0,1] op_sel_hi:[1,1,0]
	v_add_f16_sdwa v9, v74, v0 dst_sel:DWORD dst_unused:UNUSED_PAD src0_sel:WORD_1 src1_sel:DWORD
	v_pk_mul_f16 v89, v31, s26
	s_mov_b32 s29, 0x394ebb7b
	s_mov_b32 s30, 0xb9fd2fb7
	v_add_f16_sdwa v9, v75, v9 dst_sel:DWORD dst_unused:UNUSED_PAD src0_sel:WORD_1 src1_sel:DWORD
	v_pk_fma_f16 v76, v32, s27, v89 op_sel:[0,0,1] op_sel_hi:[1,1,0]
	v_pk_mul_f16 v90, v33, s28
	s_mov_b32 s31, 0x3bf1b94e
	s_mov_b32 s33, 0xbbc43b15
	v_add_f16_sdwa v9, v76, v9 dst_sel:DWORD dst_unused:UNUSED_PAD src0_sel:WORD_1 src1_sel:DWORD
	v_pk_fma_f16 v78, v34, s29, v90 op_sel:[0,0,1] op_sel_hi:[1,1,0]
	v_pk_mul_f16 v91, v36, s30
	s_mov_b32 s34, 0x3770b3a8
	v_add_f16_sdwa v9, v78, v9 dst_sel:DWORD dst_unused:UNUSED_PAD src0_sel:WORD_1 src1_sel:DWORD
	v_pk_fma_f16 v79, v37, s31, v91 op_sel:[0,0,1] op_sel_hi:[1,1,0]
	v_mul_f16_sdwa v83, v43, s18 dst_sel:DWORD dst_unused:UNUSED_PAD src0_sel:WORD_1 src1_sel:DWORD
	v_pk_mul_f16 v92, v40, s33
	v_lshrrev_b32_e32 v103, 16, v40
	v_mul_f16_e32 v98, 0xb94e, v43
	v_add_f16_sdwa v24, v79, v9 dst_sel:DWORD dst_unused:UNUSED_PAD src0_sel:WORD_1 src1_sel:DWORD
	v_fma_f16 v9, v40, s16, v83
	v_pk_fma_f16 v80, v43, s34, v92 op_sel:[0,0,1] op_sel_hi:[1,1,0]
	v_mul_f16_e32 v82, 0x3770, v43
	v_fma_f16 v25, v103, s16, -v98
	v_mul_f16_e32 v102, 0x3a95, v43
	v_add_f16_e32 v9, v9, v10
	v_add_f16_sdwa v10, v80, v24 dst_sel:DWORD dst_unused:UNUSED_PAD src0_sel:WORD_1 src1_sel:DWORD
	v_fma_f16 v24, v103, s10, -v82
	v_add_f16_e32 v25, v25, v22
	v_fma_f16 v22, v103, s14, -v102
	v_mul_f16_e32 v104, 0xbb7b, v43
	v_add_f16_e32 v24, v24, v26
	v_add_f16_e32 v26, v22, v27
	v_fma_f16 v22, v103, s15, -v104
	v_pk_fma_f16 v87, v21, s5, v87 op_sel:[0,0,1] op_sel_hi:[1,1,0] neg_lo:[1,0,0] neg_hi:[1,0,0]
	v_add_f16_e32 v27, v22, v28
	v_pk_fma_f16 v88, v30, s25, v88 op_sel:[0,0,1] op_sel_hi:[1,1,0] neg_lo:[1,0,0] neg_hi:[1,0,0]
	v_add_f16_sdwa v22, v87, v0 dst_sel:DWORD dst_unused:UNUSED_PAD src0_sel:DWORD src1_sel:WORD_1
	v_pk_fma_f16 v89, v32, s27, v89 op_sel:[0,0,1] op_sel_hi:[1,1,0] neg_lo:[1,0,0] neg_hi:[1,0,0]
	v_add_f16_e32 v22, v88, v22
	v_pk_fma_f16 v90, v34, s29, v90 op_sel:[0,0,1] op_sel_hi:[1,1,0] neg_lo:[1,0,0] neg_hi:[1,0,0]
	v_add_f16_e32 v22, v89, v22
	;; [unrolled: 2-line block ×4, first 2 shown]
	v_add_f16_e32 v28, v92, v22
	v_mul_lo_u16_e32 v22, 13, v20
	s_barrier
	s_and_saveexec_b64 s[4:5], s[0:1]
	s_cbranch_execz .LBB0_7
; %bb.6:
	v_mul_f16_e32 v107, 0x388b, v94
	v_mul_f16_e32 v109, 0x2fb7, v94
	;; [unrolled: 1-line block ×8, first 2 shown]
	v_add_f16_e32 v84, v84, v94
	v_mul_f16_e32 v121, 0xbbc4, v100
	v_mul_f16_e32 v123, 0xb5ac, v100
	;; [unrolled: 1-line block ×4, first 2 shown]
	v_add_f16_e32 v85, v85, v93
	v_add_f16_sdwa v84, v84, v0 dst_sel:DWORD dst_unused:UNUSED_PAD src0_sel:DWORD src1_sel:WORD_1
	v_add_f16_e32 v84, v85, v84
	v_add_f16_e32 v95, v95, v100
	v_mul_f16_e32 v112, 0xb9fd, v18
	v_add_f16_e32 v84, v95, v84
	v_mul_f16_e32 v95, 0xbbc4, v96
	v_mul_f16_e32 v119, 0x2fb7, v29
	v_add_f16_e32 v95, v99, v95
	v_sub_f16_e32 v39, v112, v39
	v_mul_f16_e32 v110, 0xb5ac, v18
	v_mul_f16_e32 v126, 0x388b, v31
	v_add_f16_e32 v84, v95, v84
	v_mul_f16_e32 v95, 0x3b15, v97
	v_sub_f16_e32 v42, v119, v42
	v_add_f16_e32 v39, v39, v0
	v_mul_f16_e32 v117, 0xb9fd, v29
	v_add_f16_e32 v95, v101, v95
	v_mul_f16_e32 v101, 0xbbc4, v33
	v_add_f16_e32 v39, v42, v39
	v_sub_f16_e32 v45, v126, v45
	v_sub_f16_e32 v35, v110, v35
	v_mul_f16_e32 v124, 0x3b15, v31
	v_mul_f16_e32 v126, 0x3b15, v36
	v_add_f16_e32 v39, v45, v39
	v_sub_f16_e32 v47, v101, v47
	v_add_f16_e32 v35, v35, v0
	v_sub_f16_e32 v38, v117, v38
	v_mul_f16_e32 v99, 0x2fb7, v33
	v_add_f16_e32 v39, v47, v39
	v_sub_f16_e32 v50, v126, v50
	v_add_f16_e32 v35, v38, v35
	v_sub_f16_e32 v38, v124, v41
	v_mul_f16_e32 v42, 0xbbc4, v36
	v_add_f16_e32 v39, v50, v39
	v_mul_f16_e32 v50, 0xb5ac, v40
	v_add_f16_e32 v35, v38, v35
	v_sub_f16_e32 v38, v99, v44
	v_sub_f16_e32 v50, v50, v61
	v_mul_f16_e32 v61, 0x388b, v40
	v_add_f16_e32 v35, v38, v35
	v_sub_f16_e32 v38, v42, v46
	v_add_f16_e32 v35, v38, v35
	v_sub_f16_e32 v38, v61, v53
	v_add_f16_e32 v35, v38, v35
	v_add_f16_e32 v38, v59, v109
	v_add_f16_sdwa v38, v38, v0 dst_sel:DWORD dst_unused:UNUSED_PAD src0_sel:DWORD src1_sel:WORD_1
	v_add_f16_e32 v41, v60, v116
	v_mul_f16_e32 v100, 0x3b15, v96
	v_add_f16_e32 v38, v41, v38
	v_add_f16_e32 v41, v66, v123
	v_mul_f16_e32 v119, 0x388b, v97
	v_add_f16_e32 v38, v41, v38
	;; [unrolled: 3-line block ×4, first 2 shown]
	v_add_f16_e32 v41, v98, v126
	v_alignbit_b32 v105, v0, v0, 16
	v_mul_f16_e32 v115, 0xbbc4, v29
	v_add_f16_e32 v38, v41, v38
	v_sub_f16_e32 v41, v108, v55
	v_mul_f16_e32 v122, 0xb5ac, v31
	v_add_f16_e32 v41, v41, v0
	v_sub_f16_e32 v42, v115, v56
	v_pk_add_f16 v1, v1, v105 op_sel:[0,1] op_sel_hi:[1,0]
	v_mul_f16_e32 v85, 0x3b15, v33
	v_add_f16_e32 v41, v42, v41
	v_sub_f16_e32 v42, v122, v63
	v_pk_add_f16 v1, v15, v1
	v_mul_f16_e32 v112, 0x388b, v36
	v_add_f16_e32 v41, v42, v41
	v_sub_f16_e32 v42, v85, v67
	v_pk_add_f16 v1, v16, v1
	;; [unrolled: 4-line block ×4, first 2 shown]
	v_mul_f16_e32 v113, 0x388b, v29
	v_add_f16_e32 v39, v50, v39
	v_add_f16_e32 v50, v69, v111
	;; [unrolled: 1-line block ×4, first 2 shown]
	v_sub_f16_e32 v48, v106, v48
	v_pk_add_f16 v1, v11, v1
	v_mul_f16_e32 v120, 0x2fb7, v31
	v_add_f16_e32 v84, v95, v84
	v_mul_f16_e32 v95, 0xb5ac, v103
	v_add_f16_sdwa v50, v50, v0 dst_sel:DWORD dst_unused:UNUSED_PAD src0_sel:DWORD src1_sel:WORD_1
	v_add_f16_sdwa v42, v42, v0 dst_sel:DWORD dst_unused:UNUSED_PAD src0_sel:DWORD src1_sel:WORD_1
	v_add_f16_e32 v44, v52, v114
	v_add_f16_e32 v0, v48, v0
	v_sub_f16_e32 v48, v113, v49
	v_pk_add_f16 v1, v12, v1
	v_mul_f16_e32 v94, 0xb5ac, v33
	v_mul_f16_e32 v93, 0xb9fd, v96
	v_add_f16_e32 v95, v104, v95
	v_add_f16_e32 v42, v44, v42
	;; [unrolled: 1-line block ×4, first 2 shown]
	v_sub_f16_e32 v48, v120, v54
	v_pk_add_f16 v1, v4, v1
	v_mul_f16_e32 v104, 0xb9fd, v36
	v_add_f16_e32 v84, v95, v84
	v_mul_f16_e32 v95, 0x2fb7, v97
	v_add_f16_e32 v42, v44, v42
	v_add_f16_e32 v44, v64, v93
	;; [unrolled: 1-line block ×3, first 2 shown]
	v_sub_f16_e32 v48, v94, v57
	v_pk_add_f16 v1, v5, v1
	v_mul_f16_e32 v45, 0xbbc4, v40
	v_mul_f16_e32 v101, 0x3b15, v103
	v_add_f16_e32 v42, v44, v42
	v_add_f16_e32 v44, v68, v95
	;; [unrolled: 1-line block ×3, first 2 shown]
	v_sub_f16_e32 v48, v104, v62
	v_pk_add_f16 v1, v2, v1
	v_add_f16_e32 v42, v44, v42
	v_add_f16_e32 v44, v82, v101
	s_mov_b32 s24, 0xffff
	v_add_f16_e32 v0, v48, v0
	v_sub_f16_e32 v45, v45, v65
	v_pk_add_f16 v1, v3, v1
	v_add_f16_e32 v42, v44, v42
	v_bfi_b32 v44, s24, v74, v87
	v_add_f16_e32 v0, v45, v0
	v_lshlrev_b32_e32 v45, 2, v22
	v_pk_add_f16 v1, v17, v1
	v_bfi_b32 v46, s24, v75, v88
	ds_write_b32 v45, v1
	v_pk_add_f16 v1, v44, v105
	v_add_f16_e32 v69, v70, v118
	v_bfi_b32 v47, s24, v76, v89
	v_pk_add_f16 v1, v46, v1
	v_mul_f16_e32 v96, 0x2fb7, v96
	v_add_f16_e32 v50, v69, v50
	v_add_f16_e32 v69, v73, v125
	v_bfi_b32 v51, s24, v78, v90
	v_pk_add_f16 v1, v47, v1
	v_mul_f16_e32 v97, 0xbbc4, v97
	v_add_f16_e32 v50, v69, v50
	v_add_f16_e32 v69, v81, v96
	v_bfi_b32 v52, s24, v79, v91
	v_pk_add_f16 v1, v51, v1
	v_mul_f16_e32 v103, 0x388b, v103
	v_add_f16_e32 v50, v69, v50
	v_add_f16_e32 v69, v86, v97
	v_bfi_b32 v53, s24, v80, v92
	v_pk_add_f16 v1, v52, v1
	v_add_f16_e32 v50, v69, v50
	v_add_f16_e32 v69, v102, v103
	v_pk_add_f16 v1, v53, v1
	v_add_f16_e32 v50, v69, v50
	v_alignbit_b32 v2, v42, v1, 16
	v_pack_b32_f16 v0, v0, v1
	ds_write2_b32 v45, v0, v2 offset0:1 offset1:2
	v_pack_b32_f16 v0, v35, v50
	v_pack_b32_f16 v1, v41, v38
	ds_write2_b32 v45, v1, v0 offset0:3 offset1:4
	v_pk_mul_f16 v0, v21, s23 op_sel_hi:[1,0]
	v_pk_mul_f16 v1, v30, s21 op_sel_hi:[1,0]
	v_pk_fma_f16 v11, v18, s19, v0 op_sel:[0,0,1] op_sel_hi:[1,0,0] neg_lo:[0,0,1] neg_hi:[0,0,1]
	v_pk_fma_f16 v0, v18, s19, v0 op_sel:[0,0,1] op_sel_hi:[1,0,0]
	v_bfi_b32 v12, s24, v11, v0
	v_pk_fma_f16 v13, v29, s10, v1 op_sel:[0,0,1] op_sel_hi:[1,0,0] neg_lo:[0,0,1] neg_hi:[0,0,1]
	v_pk_fma_f16 v1, v29, s10, v1 op_sel:[0,0,1] op_sel_hi:[1,0,0]
	v_pk_mul_f16 v2, v32, s18 op_sel_hi:[1,0]
	v_pk_add_f16 v12, v12, v105 op_sel:[0,1] op_sel_hi:[1,0]
	v_bfi_b32 v14, s24, v13, v1
	v_pk_add_f16 v12, v14, v12
	v_pk_fma_f16 v14, v31, s16, v2 op_sel:[0,0,1] op_sel_hi:[1,0,0] neg_lo:[0,0,1] neg_hi:[0,0,1]
	v_pk_fma_f16 v2, v31, s16, v2 op_sel:[0,0,1] op_sel_hi:[1,0,0]
	v_pk_mul_f16 v3, v34, s22 op_sel_hi:[1,0]
	v_bfi_b32 v15, s24, v14, v2
	v_pk_add_f16 v12, v15, v12
	v_pk_fma_f16 v15, v33, s14, v3 op_sel:[0,0,1] op_sel_hi:[1,0,0] neg_lo:[0,0,1] neg_hi:[0,0,1]
	v_pk_fma_f16 v3, v33, s14, v3 op_sel:[0,0,1] op_sel_hi:[1,0,0]
	v_bfi_b32 v0, s24, v0, v11
	v_pk_mul_f16 v4, v37, s17 op_sel_hi:[1,0]
	v_bfi_b32 v16, s24, v15, v3
	v_pk_add_f16 v0, v0, v105 op_sel:[0,1] op_sel_hi:[1,0]
	v_bfi_b32 v1, s24, v1, v13
	v_pk_add_f16 v12, v16, v12
	v_pk_fma_f16 v16, v36, s15, v4 op_sel:[0,0,1] op_sel_hi:[1,0,0] neg_lo:[0,0,1] neg_hi:[0,0,1]
	v_pk_fma_f16 v4, v36, s15, v4 op_sel:[0,0,1] op_sel_hi:[1,0,0]
	v_pk_add_f16 v0, v1, v0
	v_bfi_b32 v1, s24, v2, v14
	v_pk_mul_f16 v5, v43, s20 op_sel_hi:[1,0]
	v_bfi_b32 v17, s24, v16, v4
	v_pk_add_f16 v0, v1, v0
	v_bfi_b32 v1, s24, v3, v15
	v_pk_add_f16 v12, v17, v12
	v_pk_fma_f16 v17, v40, s11, v5 op_sel:[0,0,1] op_sel_hi:[1,0,0] neg_lo:[0,0,1] neg_hi:[0,0,1]
	v_pk_fma_f16 v5, v40, s11, v5 op_sel:[0,0,1] op_sel_hi:[1,0,0]
	v_pk_add_f16 v0, v1, v0
	v_bfi_b32 v1, s24, v4, v16
	v_pk_add_f16 v0, v1, v0
	v_bfi_b32 v1, s24, v5, v17
	s_mov_b32 s10, 0x5040100
	v_pk_add_f16 v0, v1, v0
	v_perm_b32 v1, v27, v7, s10
	v_bfi_b32 v18, s24, v17, v5
	ds_write2_b32 v45, v0, v1 offset0:7 offset1:8
	v_perm_b32 v0, v25, v9, s10
	v_perm_b32 v1, v26, v8, s10
	v_pk_add_f16 v12, v18, v12
	v_pack_b32_f16 v18, v39, v84
	ds_write2_b32 v45, v1, v0 offset0:9 offset1:10
	v_perm_b32 v0, v28, v23, s10
	v_perm_b32 v1, v24, v10, s10
	ds_write2_b32 v45, v18, v12 offset0:5 offset1:6
	ds_write2_b32 v45, v1, v0 offset0:11 offset1:12
.LBB0_7:
	s_or_b64 exec, exec, s[4:5]
	s_movk_i32 s4, 0x4f
	v_mul_lo_u16_sdwa v14, v20, s4 dst_sel:DWORD dst_unused:UNUSED_PAD src0_sel:BYTE_0 src1_sel:DWORD
	v_add_co_u32_e32 v13, vcc, 0xd0, v20
	v_lshrrev_b16_e32 v15, 10, v14
	s_movk_i32 s4, 0x4ec5
	v_mul_lo_u16_e32 v0, 13, v15
	v_mul_u32_u24_sdwa v17, v13, s4 dst_sel:DWORD dst_unused:UNUSED_PAD src0_sel:WORD_0 src1_sel:DWORD
	v_add_u32_e32 v45, 0x1a0, v20
	v_sub_u16_e32 v0, v20, v0
	v_lshrrev_b32_e32 v18, 18, v17
	v_and_b32_e32 v16, 0xff, v0
	v_mul_lo_u16_e32 v1, 13, v18
	v_mul_u32_u24_sdwa v49, v45, s4 dst_sel:DWORD dst_unused:UNUSED_PAD src0_sel:WORD_0 src1_sel:DWORD
	v_add_u32_e32 v46, 0x270, v20
	v_lshlrev_b32_e32 v0, 2, v16
	v_sub_u16_e32 v33, v13, v1
	v_lshrrev_b32_e32 v35, 18, v49
	s_load_dwordx4 s[8:11], s[8:9], 0x0
	s_waitcnt lgkmcnt(0)
	s_barrier
	v_lshlrev_b32_e32 v1, 2, v33
	v_mul_lo_u16_e32 v2, 13, v35
	v_mul_u32_u24_sdwa v51, v46, s4 dst_sel:DWORD dst_unused:UNUSED_PAD src0_sel:WORD_0 src1_sel:DWORD
	global_load_dword v32, v0, s[2:3]
	global_load_dword v31, v1, s[2:3]
	v_sub_u16_e32 v36, v45, v2
	v_lshrrev_b32_e32 v37, 18, v51
	v_lshlrev_b32_e32 v2, 2, v36
	v_mul_lo_u16_e32 v0, 13, v37
	v_sub_u16_e32 v38, v46, v0
	global_load_dword v30, v2, s[2:3]
	v_lshlrev_b32_e32 v0, 2, v38
	global_load_dword v29, v0, s[2:3]
	v_mov_b32_e32 v0, 2
	v_lshlrev_b32_sdwa v21, v0, v20 dst_sel:DWORD dst_unused:UNUSED_PAD src0_sel:DWORD src1_sel:WORD_0
	v_add_u32_e32 v62, 0xd00, v21
	ds_read2_b32 v[0:1], v21 offset1:208
	v_add_u32_e32 v60, 0x600, v21
	v_add_u32_e32 v61, 0x1300, v21
	ds_read2_b32 v[2:3], v62 offset1:208
	ds_read2_b32 v[4:5], v60 offset0:32 offset1:240
	ds_read2_b32 v[11:12], v61 offset0:32 offset1:240
	v_mul_u32_u24_e32 v15, 26, v15
	v_mad_legacy_u16 v18, v18, 26, v33
	s_waitcnt lgkmcnt(2)
	v_lshrrev_b32_e32 v34, 16, v2
	v_lshrrev_b32_e32 v39, 16, v3
	v_add_lshl_u32 v33, v15, v16, 2
	v_lshrrev_b32_e32 v15, 16, v0
	v_lshrrev_b32_e32 v16, 16, v1
	s_waitcnt lgkmcnt(0)
	v_lshrrev_b32_e32 v41, 16, v11
	v_lshrrev_b32_e32 v40, 16, v4
	;; [unrolled: 1-line block ×3, first 2 shown]
	s_waitcnt vmcnt(0)
	s_barrier
	v_lshrrev_b32_e32 v42, 16, v5
	v_mul_f16_sdwa v44, v34, v32 dst_sel:DWORD dst_unused:UNUSED_PAD src0_sel:DWORD src1_sel:WORD_1
	v_mul_f16_sdwa v47, v2, v32 dst_sel:DWORD dst_unused:UNUSED_PAD src0_sel:DWORD src1_sel:WORD_1
	;; [unrolled: 1-line block ×4, first 2 shown]
	v_fma_f16 v2, v2, v32, -v44
	v_fma_f16 v34, v34, v32, v47
	v_fma_f16 v3, v3, v31, -v48
	v_fma_f16 v39, v39, v31, v50
	v_sub_f16_e32 v2, v0, v2
	v_sub_f16_e32 v34, v15, v34
	v_mul_f16_sdwa v52, v41, v30 dst_sel:DWORD dst_unused:UNUSED_PAD src0_sel:DWORD src1_sel:WORD_1
	v_mul_f16_sdwa v53, v11, v30 dst_sel:DWORD dst_unused:UNUSED_PAD src0_sel:DWORD src1_sel:WORD_1
	v_sub_f16_e32 v3, v1, v3
	v_sub_f16_e32 v39, v16, v39
	v_fma_f16 v0, v0, 2.0, -v2
	v_fma_f16 v15, v15, 2.0, -v34
	v_fma_f16 v11, v11, v30, -v52
	v_fma_f16 v41, v41, v30, v53
	v_fma_f16 v1, v1, 2.0, -v3
	v_fma_f16 v16, v16, 2.0, -v39
	v_pack_b32_f16 v2, v2, v34
	v_pack_b32_f16 v0, v0, v15
	v_mul_f16_sdwa v54, v43, v29 dst_sel:DWORD dst_unused:UNUSED_PAD src0_sel:DWORD src1_sel:WORD_1
	v_mul_f16_sdwa v55, v12, v29 dst_sel:DWORD dst_unused:UNUSED_PAD src0_sel:DWORD src1_sel:WORD_1
	v_sub_f16_e32 v11, v4, v11
	v_sub_f16_e32 v41, v40, v41
	ds_write2_b32 v33, v0, v2 offset1:13
	v_lshlrev_b32_e32 v34, 2, v18
	v_pack_b32_f16 v0, v1, v16
	v_pack_b32_f16 v1, v3, v39
	v_fma_f16 v12, v12, v29, -v54
	v_fma_f16 v43, v43, v29, v55
	v_fma_f16 v4, v4, 2.0, -v11
	v_fma_f16 v40, v40, 2.0, -v41
	ds_write2_b32 v34, v0, v1 offset1:13
	v_mad_legacy_u16 v0, v35, 26, v36
	v_sub_f16_e32 v12, v5, v12
	v_sub_f16_e32 v43, v42, v43
	v_lshlrev_b32_e32 v35, 2, v0
	v_pack_b32_f16 v0, v4, v40
	v_pack_b32_f16 v1, v11, v41
	v_fma_f16 v5, v5, 2.0, -v12
	v_fma_f16 v42, v42, 2.0, -v43
	ds_write2_b32 v35, v0, v1 offset1:13
	v_mad_legacy_u16 v0, v37, 26, v38
	v_lshlrev_b32_e32 v36, 2, v0
	v_pack_b32_f16 v0, v5, v42
	v_pack_b32_f16 v1, v12, v43
	v_lshrrev_b16_e32 v15, 11, v14
	ds_write2_b32 v36, v0, v1 offset1:13
	v_mul_lo_u16_e32 v0, 26, v15
	v_sub_u16_e32 v0, v20, v0
	v_and_b32_e32 v16, 0xff, v0
	v_lshrrev_b32_e32 v18, 19, v17
	v_lshlrev_b32_e32 v0, 2, v16
	v_mul_lo_u16_e32 v1, 26, v18
	s_waitcnt lgkmcnt(0)
	s_barrier
	v_sub_u16_e32 v42, v13, v1
	v_lshrrev_b32_e32 v43, 19, v49
	global_load_dword v40, v0, s[2:3] offset:52
	v_lshlrev_b32_e32 v1, 2, v42
	global_load_dword v39, v1, s[2:3] offset:52
	v_mul_lo_u16_e32 v2, 26, v43
	v_sub_u16_e32 v44, v45, v2
	v_lshrrev_b32_e32 v47, 19, v51
	v_lshlrev_b32_e32 v2, 2, v44
	v_mul_lo_u16_e32 v0, 26, v47
	v_sub_u16_e32 v48, v46, v0
	global_load_dword v38, v2, s[2:3] offset:52
	v_lshlrev_b32_e32 v0, 2, v48
	global_load_dword v37, v0, s[2:3] offset:52
	ds_read2_b32 v[0:1], v21 offset1:208
	ds_read2_b32 v[2:3], v62 offset1:208
	ds_read2_b32 v[4:5], v60 offset0:32 offset1:240
	ds_read2_b32 v[11:12], v61 offset0:32 offset1:240
	v_mul_u32_u24_e32 v15, 52, v15
	s_waitcnt lgkmcnt(3)
	v_lshrrev_b32_e32 v41, 16, v0
	s_waitcnt lgkmcnt(2)
	v_lshrrev_b32_e32 v50, 16, v2
	v_lshrrev_b32_e32 v53, 16, v3
	;; [unrolled: 1-line block ×3, first 2 shown]
	s_waitcnt lgkmcnt(0)
	v_lshrrev_b32_e32 v55, 16, v11
	v_lshrrev_b32_e32 v54, 16, v4
	;; [unrolled: 1-line block ×3, first 2 shown]
	s_waitcnt vmcnt(0)
	s_barrier
	v_lshrrev_b32_e32 v56, 16, v5
	v_mul_f16_sdwa v58, v50, v40 dst_sel:DWORD dst_unused:UNUSED_PAD src0_sel:DWORD src1_sel:WORD_1
	v_mul_f16_sdwa v59, v2, v40 dst_sel:DWORD dst_unused:UNUSED_PAD src0_sel:DWORD src1_sel:WORD_1
	v_fma_f16 v2, v2, v40, -v58
	v_fma_f16 v50, v50, v40, v59
	v_mul_f16_sdwa v63, v53, v39 dst_sel:DWORD dst_unused:UNUSED_PAD src0_sel:DWORD src1_sel:WORD_1
	v_mul_f16_sdwa v64, v3, v39 dst_sel:DWORD dst_unused:UNUSED_PAD src0_sel:DWORD src1_sel:WORD_1
	v_sub_f16_e32 v2, v0, v2
	v_sub_f16_e32 v50, v41, v50
	v_fma_f16 v3, v3, v39, -v63
	v_fma_f16 v53, v53, v39, v64
	v_fma_f16 v0, v0, 2.0, -v2
	v_fma_f16 v58, v41, 2.0, -v50
	v_mul_f16_sdwa v65, v55, v38 dst_sel:DWORD dst_unused:UNUSED_PAD src0_sel:DWORD src1_sel:WORD_1
	v_mul_f16_sdwa v66, v11, v38 dst_sel:DWORD dst_unused:UNUSED_PAD src0_sel:DWORD src1_sel:WORD_1
	v_sub_f16_e32 v3, v1, v3
	v_sub_f16_e32 v53, v52, v53
	v_add_lshl_u32 v41, v15, v16, 2
	v_pack_b32_f16 v0, v0, v58
	v_pack_b32_f16 v2, v2, v50
	v_fma_f16 v11, v11, v38, -v65
	v_fma_f16 v55, v55, v38, v66
	v_fma_f16 v1, v1, 2.0, -v3
	v_fma_f16 v52, v52, 2.0, -v53
	ds_write2_b32 v41, v0, v2 offset1:26
	v_mad_legacy_u16 v0, v18, 52, v42
	v_mul_f16_sdwa v67, v57, v37 dst_sel:DWORD dst_unused:UNUSED_PAD src0_sel:DWORD src1_sel:WORD_1
	v_mul_f16_sdwa v68, v12, v37 dst_sel:DWORD dst_unused:UNUSED_PAD src0_sel:DWORD src1_sel:WORD_1
	v_sub_f16_e32 v11, v4, v11
	v_sub_f16_e32 v55, v54, v55
	v_lshlrev_b32_e32 v42, 2, v0
	v_pack_b32_f16 v0, v1, v52
	v_pack_b32_f16 v1, v3, v53
	v_fma_f16 v12, v12, v37, -v67
	v_fma_f16 v57, v57, v37, v68
	v_fma_f16 v4, v4, 2.0, -v11
	v_fma_f16 v54, v54, 2.0, -v55
	ds_write2_b32 v42, v0, v1 offset1:26
	v_mad_legacy_u16 v0, v43, 52, v44
	v_sub_f16_e32 v12, v5, v12
	v_sub_f16_e32 v57, v56, v57
	v_lshlrev_b32_e32 v43, 2, v0
	v_pack_b32_f16 v0, v4, v54
	v_pack_b32_f16 v1, v11, v55
	v_fma_f16 v5, v5, 2.0, -v12
	v_fma_f16 v56, v56, 2.0, -v57
	ds_write2_b32 v43, v0, v1 offset1:26
	v_mad_legacy_u16 v0, v47, 52, v48
	v_lshlrev_b32_e32 v44, 2, v0
	v_pack_b32_f16 v0, v5, v56
	v_pack_b32_f16 v1, v12, v57
	v_lshrrev_b16_e32 v47, 12, v14
	ds_write2_b32 v44, v0, v1 offset1:26
	v_mul_lo_u16_e32 v0, 52, v47
	v_sub_u16_e32 v0, v20, v0
	v_and_b32_e32 v48, 0xff, v0
	v_mad_u64_u32 v[0:1], s[4:5], v48, 12, s[2:3]
	v_lshrrev_b32_e32 v50, 20, v17
	v_mul_lo_u16_e32 v3, 52, v50
	v_sub_u16_e32 v52, v13, v3
	s_waitcnt lgkmcnt(0)
	s_barrier
	global_load_dwordx3 v[0:2], v[0:1], off offset:156
	v_mul_lo_u16_e32 v3, 12, v52
	v_mov_b32_e32 v54, s3
	v_add_co_u32_e32 v3, vcc, s2, v3
	v_addc_co_u32_e32 v4, vcc, 0, v54, vcc
	global_load_dwordx3 v[3:5], v[3:4], off offset:156
	ds_read2_b32 v[11:12], v21 offset1:208
	ds_read2_b32 v[13:14], v60 offset0:32 offset1:240
	ds_read2_b32 v[15:16], v62 offset1:208
	ds_read2_b32 v[17:18], v61 offset0:32 offset1:240
	v_mul_u32_u24_e32 v47, 0xd0, v47
	s_waitcnt lgkmcnt(3)
	v_lshrrev_b32_e32 v53, 16, v11
	s_waitcnt lgkmcnt(2)
	v_lshrrev_b32_e32 v55, 16, v13
	;; [unrolled: 2-line block ×4, first 2 shown]
	v_lshrrev_b32_e32 v59, 16, v14
	v_lshrrev_b32_e32 v63, 16, v16
	v_lshrrev_b32_e32 v64, 16, v18
	v_lshrrev_b32_e32 v58, 16, v12
	v_add_lshl_u32 v47, v47, v48, 2
	s_movk_i32 s4, 0xd0
	s_waitcnt vmcnt(0)
	s_barrier
	v_mul_f16_sdwa v65, v55, v0 dst_sel:DWORD dst_unused:UNUSED_PAD src0_sel:DWORD src1_sel:WORD_1
	v_mul_f16_sdwa v66, v13, v0 dst_sel:DWORD dst_unused:UNUSED_PAD src0_sel:DWORD src1_sel:WORD_1
	;; [unrolled: 1-line block ×6, first 2 shown]
	v_fma_f16 v13, v13, v0, -v65
	v_fma_f16 v55, v55, v0, v66
	v_fma_f16 v15, v15, v1, -v67
	v_fma_f16 v56, v56, v1, v68
	;; [unrolled: 2-line block ×3, first 2 shown]
	v_sub_f16_e32 v15, v11, v15
	v_sub_f16_e32 v56, v53, v56
	;; [unrolled: 1-line block ×4, first 2 shown]
	v_mul_f16_sdwa v71, v59, v3 dst_sel:DWORD dst_unused:UNUSED_PAD src0_sel:DWORD src1_sel:WORD_1
	v_mul_f16_sdwa v72, v14, v3 dst_sel:DWORD dst_unused:UNUSED_PAD src0_sel:DWORD src1_sel:WORD_1
	;; [unrolled: 1-line block ×6, first 2 shown]
	v_fma_f16 v11, v11, 2.0, -v15
	v_fma_f16 v53, v53, 2.0, -v56
	;; [unrolled: 1-line block ×4, first 2 shown]
	v_fma_f16 v14, v14, v3, -v71
	v_fma_f16 v59, v59, v3, v72
	v_fma_f16 v16, v16, v4, -v73
	v_fma_f16 v63, v63, v4, v74
	;; [unrolled: 2-line block ×3, first 2 shown]
	v_sub_f16_e32 v13, v11, v13
	v_sub_f16_e32 v55, v53, v55
	;; [unrolled: 1-line block ×3, first 2 shown]
	v_add_f16_e32 v17, v56, v17
	v_fma_f16 v11, v11, 2.0, -v13
	v_fma_f16 v53, v53, 2.0, -v55
	;; [unrolled: 1-line block ×4, first 2 shown]
	v_sub_f16_e32 v16, v12, v16
	v_sub_f16_e32 v63, v58, v63
	;; [unrolled: 1-line block ×4, first 2 shown]
	v_fma_f16 v12, v12, 2.0, -v16
	v_fma_f16 v58, v58, 2.0, -v63
	;; [unrolled: 1-line block ×4, first 2 shown]
	v_pack_b32_f16 v11, v11, v53
	v_pack_b32_f16 v15, v15, v56
	v_sub_f16_e32 v14, v12, v14
	v_sub_f16_e32 v59, v58, v59
	;; [unrolled: 1-line block ×3, first 2 shown]
	v_add_f16_e32 v18, v63, v18
	ds_write2_b32 v47, v11, v15 offset1:52
	v_pack_b32_f16 v11, v13, v55
	v_pack_b32_f16 v13, v57, v17
	v_fma_f16 v12, v12, 2.0, -v14
	v_fma_f16 v58, v58, 2.0, -v59
	v_fma_f16 v16, v16, 2.0, -v64
	v_fma_f16 v63, v63, 2.0, -v18
	ds_write2_b32 v47, v11, v13 offset0:104 offset1:156
	v_mad_legacy_u16 v11, v50, s4, v52
	v_lshlrev_b32_e32 v48, 2, v11
	v_pack_b32_f16 v11, v12, v58
	v_pack_b32_f16 v12, v16, v63
	ds_write2_b32 v48, v11, v12 offset1:52
	v_pack_b32_f16 v11, v14, v59
	v_pack_b32_f16 v12, v64, v18
	ds_write2_b32 v48, v11, v12 offset0:104 offset1:156
	v_lshrrev_b32_e32 v11, 22, v49
	v_mul_lo_u16_e32 v11, 0xd0, v11
	v_sub_u16_e32 v11, v45, v11
	v_lshlrev_b32_e32 v45, 2, v11
	v_lshrrev_b32_e32 v11, 22, v51
	v_mul_lo_u16_e32 v11, 0xd0, v11
	v_lshlrev_b32_e32 v55, 2, v20
	v_sub_u16_e32 v11, v46, v11
	s_waitcnt lgkmcnt(0)
	s_barrier
	global_load_dword v50, v55, s[2:3] offset:780
	global_load_dword v49, v45, s[2:3] offset:780
	v_lshlrev_b32_e32 v46, 2, v11
	global_load_dword v51, v46, s[2:3] offset:780
	ds_read2_b32 v[11:12], v21 offset1:208
	ds_read2_b32 v[13:14], v62 offset1:208
	ds_read2_b32 v[15:16], v60 offset0:32 offset1:240
	ds_read2_b32 v[17:18], v61 offset0:32 offset1:240
	s_waitcnt lgkmcnt(0)
	v_lshrrev_b32_e32 v52, 16, v11
	v_lshrrev_b32_e32 v53, 16, v13
	;; [unrolled: 1-line block ×8, first 2 shown]
	s_waitcnt vmcnt(0)
	s_barrier
	v_mul_f16_sdwa v65, v53, v50 dst_sel:DWORD dst_unused:UNUSED_PAD src0_sel:DWORD src1_sel:WORD_1
	v_mul_f16_sdwa v66, v13, v50 dst_sel:DWORD dst_unused:UNUSED_PAD src0_sel:DWORD src1_sel:WORD_1
	;; [unrolled: 1-line block ×4, first 2 shown]
	v_fma_f16 v13, v13, v50, -v65
	v_fma_f16 v53, v53, v50, v66
	v_mul_f16_sdwa v69, v59, v49 dst_sel:DWORD dst_unused:UNUSED_PAD src0_sel:DWORD src1_sel:WORD_1
	v_mul_f16_sdwa v70, v17, v49 dst_sel:DWORD dst_unused:UNUSED_PAD src0_sel:DWORD src1_sel:WORD_1
	;; [unrolled: 1-line block ×3, first 2 shown]
	v_fma_f16 v14, v14, v50, -v67
	v_fma_f16 v57, v57, v50, v68
	v_sub_f16_e32 v13, v11, v13
	v_sub_f16_e32 v53, v52, v53
	v_fma_f16 v17, v17, v49, -v69
	v_fma_f16 v59, v59, v49, v70
	v_fma_f16 v65, v18, v51, -v71
	v_mul_f16_sdwa v18, v18, v51 dst_sel:DWORD dst_unused:UNUSED_PAD src0_sel:DWORD src1_sel:WORD_1
	v_fma_f16 v11, v11, 2.0, -v13
	v_fma_f16 v52, v52, 2.0, -v53
	v_sub_f16_e32 v14, v12, v14
	v_sub_f16_e32 v57, v56, v57
	v_fma_f16 v18, v64, v51, v18
	v_fma_f16 v12, v12, 2.0, -v14
	v_fma_f16 v56, v56, 2.0, -v57
	v_sub_f16_e32 v17, v15, v17
	v_sub_f16_e32 v59, v58, v59
	v_pack_b32_f16 v11, v11, v52
	v_pack_b32_f16 v13, v13, v53
	v_fma_f16 v15, v15, 2.0, -v17
	v_fma_f16 v58, v58, 2.0, -v59
	v_sub_f16_e32 v64, v16, v65
	v_sub_f16_e32 v18, v63, v18
	ds_write2_b32 v21, v11, v13 offset1:208
	v_pack_b32_f16 v11, v12, v56
	v_pack_b32_f16 v12, v14, v57
	v_fma_f16 v16, v16, 2.0, -v64
	v_fma_f16 v63, v63, 2.0, -v18
	ds_write2_b32 v60, v11, v12 offset0:32 offset1:240
	v_pack_b32_f16 v11, v15, v58
	v_pack_b32_f16 v12, v17, v59
	v_add_u32_e32 v13, 0xd00, v45
	ds_write2_b32 v13, v11, v12 offset1:208
	v_pack_b32_f16 v11, v16, v63
	v_pack_b32_f16 v12, v64, v18
	v_add_u32_e32 v13, 0x1300, v46
	ds_write2_b32 v13, v11, v12 offset0:32 offset1:240
	s_waitcnt lgkmcnt(0)
	s_barrier
	global_load_dword v52, v55, s[2:3] offset:1612
	global_load_dword v53, v55, s[2:3] offset:2444
	ds_read2_b32 v[11:12], v21 offset1:208
	ds_read2_b32 v[13:14], v62 offset1:208
	ds_read2_b32 v[15:16], v60 offset0:32 offset1:240
	ds_read2_b32 v[17:18], v61 offset0:32 offset1:240
	v_add_co_u32_e32 v56, vcc, s2, v55
	v_addc_co_u32_e32 v57, vcc, 0, v54, vcc
	s_waitcnt lgkmcnt(2)
	v_lshrrev_b32_e32 v58, 16, v13
	v_lshrrev_b32_e32 v63, 16, v14
	;; [unrolled: 1-line block ×4, first 2 shown]
	s_waitcnt lgkmcnt(0)
	v_lshrrev_b32_e32 v65, 16, v17
	v_lshrrev_b32_e32 v67, 16, v18
	;; [unrolled: 1-line block ×4, first 2 shown]
	s_waitcnt vmcnt(0)
	s_barrier
	v_mul_f16_sdwa v68, v58, v52 dst_sel:DWORD dst_unused:UNUSED_PAD src0_sel:DWORD src1_sel:WORD_1
	v_mul_f16_sdwa v69, v13, v52 dst_sel:DWORD dst_unused:UNUSED_PAD src0_sel:DWORD src1_sel:WORD_1
	;; [unrolled: 1-line block ×4, first 2 shown]
	v_fma_f16 v13, v13, v52, -v68
	v_fma_f16 v58, v58, v52, v69
	v_fma_f16 v14, v14, v53, -v70
	v_fma_f16 v63, v63, v53, v71
	v_mul_f16_sdwa v72, v65, v52 dst_sel:DWORD dst_unused:UNUSED_PAD src0_sel:DWORD src1_sel:WORD_1
	v_mul_f16_sdwa v73, v17, v52 dst_sel:DWORD dst_unused:UNUSED_PAD src0_sel:DWORD src1_sel:WORD_1
	;; [unrolled: 1-line block ×4, first 2 shown]
	v_sub_f16_e32 v13, v11, v13
	v_sub_f16_e32 v58, v54, v58
	;; [unrolled: 1-line block ×4, first 2 shown]
	v_fma_f16 v17, v17, v52, -v72
	v_fma_f16 v65, v65, v52, v73
	v_fma_f16 v18, v18, v53, -v74
	v_fma_f16 v67, v67, v53, v75
	v_fma_f16 v11, v11, 2.0, -v13
	v_fma_f16 v54, v54, 2.0, -v58
	;; [unrolled: 1-line block ×4, first 2 shown]
	v_sub_f16_e32 v17, v15, v17
	v_sub_f16_e32 v65, v64, v65
	v_sub_f16_e32 v18, v16, v18
	v_sub_f16_e32 v67, v66, v67
	v_pack_b32_f16 v11, v11, v54
	v_pack_b32_f16 v12, v12, v59
	v_fma_f16 v15, v15, 2.0, -v17
	v_fma_f16 v64, v64, 2.0, -v65
	;; [unrolled: 1-line block ×4, first 2 shown]
	v_pack_b32_f16 v13, v13, v58
	ds_write2_b32 v21, v11, v12 offset1:208
	v_pack_b32_f16 v11, v14, v63
	ds_write2_b32 v60, v13, v11 offset0:32 offset1:240
	v_pack_b32_f16 v11, v15, v64
	v_pack_b32_f16 v13, v16, v66
	;; [unrolled: 1-line block ×3, first 2 shown]
	ds_write2_b32 v62, v11, v13 offset1:208
	v_pack_b32_f16 v11, v18, v67
	ds_write2_b32 v61, v12, v11 offset0:32 offset1:240
	s_waitcnt lgkmcnt(0)
	s_barrier
	global_load_dword v54, v55, s[2:3] offset:3276
	s_movk_i32 s2, 0x1000
	v_add_co_u32_e32 v11, vcc, s2, v56
	v_addc_co_u32_e32 v12, vcc, 0, v57, vcc
	global_load_dword v55, v[11:12], off offset:12
	global_load_dword v56, v[11:12], off offset:844
	;; [unrolled: 1-line block ×3, first 2 shown]
	ds_read2_b32 v[65:66], v21 offset1:208
	ds_read2_b32 v[11:12], v62 offset1:208
	ds_read2_b32 v[68:69], v60 offset0:32 offset1:240
	ds_read2_b32 v[13:14], v61 offset0:32 offset1:240
	s_waitcnt lgkmcnt(3)
	v_lshrrev_b32_e32 v15, 16, v65
	s_waitcnt lgkmcnt(2)
	v_lshrrev_b32_e32 v16, 16, v11
	v_lshrrev_b32_e32 v18, 16, v12
	s_waitcnt lgkmcnt(0)
	v_lshrrev_b32_e32 v58, 16, v13
	v_lshrrev_b32_e32 v59, 16, v14
	;; [unrolled: 1-line block ×5, first 2 shown]
	s_waitcnt vmcnt(3)
	v_mul_f16_sdwa v63, v16, v54 dst_sel:DWORD dst_unused:UNUSED_PAD src0_sel:DWORD src1_sel:WORD_1
	v_mul_f16_sdwa v64, v11, v54 dst_sel:DWORD dst_unused:UNUSED_PAD src0_sel:DWORD src1_sel:WORD_1
	v_fma_f16 v11, v11, v54, -v63
	v_fma_f16 v16, v16, v54, v64
	s_waitcnt vmcnt(2)
	v_mul_f16_sdwa v67, v18, v55 dst_sel:DWORD dst_unused:UNUSED_PAD src0_sel:DWORD src1_sel:WORD_1
	v_mul_f16_sdwa v72, v12, v55 dst_sel:DWORD dst_unused:UNUSED_PAD src0_sel:DWORD src1_sel:WORD_1
	s_waitcnt vmcnt(1)
	v_mul_f16_sdwa v73, v58, v56 dst_sel:DWORD dst_unused:UNUSED_PAD src0_sel:DWORD src1_sel:WORD_1
	v_mul_f16_sdwa v74, v13, v56 dst_sel:DWORD dst_unused:UNUSED_PAD src0_sel:DWORD src1_sel:WORD_1
	;; [unrolled: 3-line block ×3, first 2 shown]
	v_fma_f16 v63, v12, v55, -v67
	v_fma_f16 v18, v18, v55, v72
	v_fma_f16 v13, v13, v56, -v73
	v_fma_f16 v58, v58, v56, v74
	;; [unrolled: 2-line block ×3, first 2 shown]
	v_sub_f16_e32 v12, v65, v11
	v_sub_f16_e32 v59, v15, v16
	;; [unrolled: 1-line block ×8, first 2 shown]
	v_fma_f16 v11, v65, 2.0, -v12
	v_fma_f16 v58, v15, 2.0, -v59
	;; [unrolled: 1-line block ×8, first 2 shown]
	v_pack_b32_f16 v69, v12, v59
	v_pack_b32_f16 v70, v14, v63
	;; [unrolled: 1-line block ×6, first 2 shown]
	ds_write2_b32 v62, v69, v70 offset1:208
	v_pack_b32_f16 v62, v15, v66
	v_pack_b32_f16 v69, v17, v68
	ds_write2_b32 v61, v71, v72 offset0:32 offset1:240
	ds_write2_b32 v21, v73, v74 offset1:208
	ds_write2_b32 v60, v62, v69 offset0:32 offset1:240
	s_waitcnt lgkmcnt(0)
	s_barrier
	s_and_saveexec_b64 s[2:3], s[0:1]
	s_cbranch_execz .LBB0_9
; %bb.8:
	s_add_u32 s4, s6, 0x1a00
	s_addc_u32 s5, s7, 0
	v_or_b32_e32 v61, 0x1000, v19
	global_load_dword v60, v19, s[4:5]
	global_load_dword v62, v19, s[4:5] offset:512
	global_load_dword v79, v19, s[4:5] offset:1024
	;; [unrolled: 1-line block ×7, first 2 shown]
	global_load_dword v85, v61, s[4:5]
	v_or_b32_e32 v61, 0x1200, v19
	global_load_dword v86, v61, s[4:5]
	v_or_b32_e32 v61, 0x1400, v19
	;; [unrolled: 2-line block ×3, first 2 shown]
	ds_read_b32 v61, v21
	v_or_b32_e32 v70, 0x1800, v19
	global_load_dword v88, v69, s[4:5]
	global_load_dword v89, v70, s[4:5]
	s_waitcnt lgkmcnt(0)
	v_lshrrev_b32_e32 v69, 16, v61
	s_waitcnt vmcnt(12)
	v_mul_f16_sdwa v70, v69, v60 dst_sel:DWORD dst_unused:UNUSED_PAD src0_sel:DWORD src1_sel:WORD_1
	v_mul_f16_sdwa v71, v61, v60 dst_sel:DWORD dst_unused:UNUSED_PAD src0_sel:DWORD src1_sel:WORD_1
	v_fma_f16 v61, v61, v60, -v70
	v_fma_f16 v60, v69, v60, v71
	v_pack_b32_f16 v60, v61, v60
	ds_write_b32 v21, v60
	ds_read2st64_b32 v[60:61], v19 offset0:2 offset1:4
	ds_read2st64_b32 v[69:70], v19 offset0:6 offset1:8
	;; [unrolled: 1-line block ×6, first 2 shown]
	s_waitcnt lgkmcnt(5)
	v_lshrrev_b32_e32 v90, 16, v60
	s_waitcnt vmcnt(11)
	v_mul_f16_sdwa v91, v60, v62 dst_sel:DWORD dst_unused:UNUSED_PAD src0_sel:DWORD src1_sel:WORD_1
	v_lshrrev_b32_e32 v92, 16, v61
	s_waitcnt vmcnt(10)
	v_mul_f16_sdwa v93, v61, v79 dst_sel:DWORD dst_unused:UNUSED_PAD src0_sel:DWORD src1_sel:WORD_1
	s_waitcnt lgkmcnt(4)
	v_lshrrev_b32_e32 v94, 16, v69
	s_waitcnt vmcnt(9)
	v_mul_f16_sdwa v95, v69, v80 dst_sel:DWORD dst_unused:UNUSED_PAD src0_sel:DWORD src1_sel:WORD_1
	v_lshrrev_b32_e32 v96, 16, v70
	s_waitcnt vmcnt(8)
	v_mul_f16_sdwa v97, v70, v81 dst_sel:DWORD dst_unused:UNUSED_PAD src0_sel:DWORD src1_sel:WORD_1
	;; [unrolled: 7-line block ×3, first 2 shown]
	s_waitcnt lgkmcnt(2)
	v_lshrrev_b32_e32 v102, 16, v73
	s_waitcnt vmcnt(5)
	v_mul_f16_sdwa v103, v73, v84 dst_sel:DWORD dst_unused:UNUSED_PAD src0_sel:DWORD src1_sel:WORD_1
	v_lshrrev_b32_e32 v104, 16, v74
	v_mul_f16_sdwa v110, v90, v62 dst_sel:DWORD dst_unused:UNUSED_PAD src0_sel:DWORD src1_sel:WORD_1
	v_fma_f16 v90, v90, v62, v91
	v_mul_f16_sdwa v91, v92, v79 dst_sel:DWORD dst_unused:UNUSED_PAD src0_sel:DWORD src1_sel:WORD_1
	s_waitcnt vmcnt(4)
	v_mul_f16_sdwa v105, v74, v85 dst_sel:DWORD dst_unused:UNUSED_PAD src0_sel:DWORD src1_sel:WORD_1
	s_waitcnt lgkmcnt(1)
	v_lshrrev_b32_e32 v106, 16, v75
	s_waitcnt vmcnt(3)
	v_mul_f16_sdwa v107, v75, v86 dst_sel:DWORD dst_unused:UNUSED_PAD src0_sel:DWORD src1_sel:WORD_1
	v_lshrrev_b32_e32 v108, 16, v76
	v_fma_f16 v92, v92, v79, v93
	v_mul_f16_sdwa v93, v94, v80 dst_sel:DWORD dst_unused:UNUSED_PAD src0_sel:DWORD src1_sel:WORD_1
	v_fma_f16 v94, v94, v80, v95
	v_mul_f16_sdwa v95, v96, v81 dst_sel:DWORD dst_unused:UNUSED_PAD src0_sel:DWORD src1_sel:WORD_1
	;; [unrolled: 2-line block ×6, first 2 shown]
	v_fma_f16 v60, v60, v62, -v110
	v_fma_f16 v61, v61, v79, -v91
	s_waitcnt vmcnt(2)
	v_mul_f16_sdwa v109, v76, v87 dst_sel:DWORD dst_unused:UNUSED_PAD src0_sel:DWORD src1_sel:WORD_1
	v_fma_f16 v104, v104, v85, v105
	v_mul_f16_sdwa v105, v106, v86 dst_sel:DWORD dst_unused:UNUSED_PAD src0_sel:DWORD src1_sel:WORD_1
	v_fma_f16 v106, v106, v86, v107
	v_mul_f16_sdwa v107, v108, v87 dst_sel:DWORD dst_unused:UNUSED_PAD src0_sel:DWORD src1_sel:WORD_1
	v_fma_f16 v62, v69, v80, -v93
	v_fma_f16 v69, v70, v81, -v95
	v_fma_f16 v70, v71, v82, -v97
	v_fma_f16 v71, v72, v83, -v99
	v_fma_f16 v72, v73, v84, -v101
	v_fma_f16 v73, v74, v85, -v103
	v_pack_b32_f16 v60, v60, v90
	v_pack_b32_f16 v61, v61, v92
	v_fma_f16 v74, v75, v86, -v105
	v_fma_f16 v75, v76, v87, -v107
	v_pack_b32_f16 v62, v62, v94
	v_pack_b32_f16 v69, v69, v96
	;; [unrolled: 1-line block ×6, first 2 shown]
	ds_write2st64_b32 v19, v60, v61 offset0:2 offset1:4
	ds_write2st64_b32 v19, v62, v69 offset0:6 offset1:8
	;; [unrolled: 1-line block ×4, first 2 shown]
	v_fma_f16 v60, v108, v87, v109
	v_pack_b32_f16 v74, v74, v106
	v_pack_b32_f16 v60, v75, v60
	ds_write2st64_b32 v19, v74, v60 offset0:18 offset1:20
	s_waitcnt lgkmcnt(5)
	v_lshrrev_b32_e32 v60, 16, v77
	s_waitcnt vmcnt(1)
	v_mul_f16_sdwa v61, v60, v88 dst_sel:DWORD dst_unused:UNUSED_PAD src0_sel:DWORD src1_sel:WORD_1
	v_mul_f16_sdwa v62, v77, v88 dst_sel:DWORD dst_unused:UNUSED_PAD src0_sel:DWORD src1_sel:WORD_1
	v_fma_f16 v61, v77, v88, -v61
	v_fma_f16 v60, v60, v88, v62
	v_pack_b32_f16 v60, v61, v60
	v_lshrrev_b32_e32 v61, 16, v78
	s_waitcnt vmcnt(0)
	v_mul_f16_sdwa v62, v61, v89 dst_sel:DWORD dst_unused:UNUSED_PAD src0_sel:DWORD src1_sel:WORD_1
	v_mul_f16_sdwa v69, v78, v89 dst_sel:DWORD dst_unused:UNUSED_PAD src0_sel:DWORD src1_sel:WORD_1
	v_fma_f16 v62, v78, v89, -v62
	v_fma_f16 v61, v61, v89, v69
	v_pack_b32_f16 v61, v62, v61
	ds_write2st64_b32 v19, v60, v61 offset0:22 offset1:24
.LBB0_9:
	s_or_b64 exec, exec, s[2:3]
	s_waitcnt lgkmcnt(0)
	s_barrier
	s_and_saveexec_b64 s[2:3], s[0:1]
	s_cbranch_execz .LBB0_11
; %bb.10:
	ds_read2st64_b32 v[11:12], v21 offset1:2
	ds_read2st64_b32 v[13:14], v21 offset0:4 offset1:6
	ds_read2st64_b32 v[15:16], v21 offset0:8 offset1:10
	;; [unrolled: 1-line block ×5, first 2 shown]
	ds_read_b32 v23, v21 offset:6144
	s_waitcnt lgkmcnt(6)
	v_lshrrev_b32_e32 v58, 16, v11
	v_lshrrev_b32_e32 v59, 16, v12
	s_waitcnt lgkmcnt(5)
	v_lshrrev_b32_e32 v65, 16, v13
	v_lshrrev_b32_e32 v63, 16, v14
	;; [unrolled: 3-line block ×6, first 2 shown]
	s_waitcnt lgkmcnt(0)
	v_lshrrev_b32_e32 v28, 16, v23
.LBB0_11:
	s_or_b64 exec, exec, s[2:3]
	s_barrier
	s_and_saveexec_b64 s[2:3], s[0:1]
	s_cbranch_execz .LBB0_13
; %bb.12:
	v_sub_f16_e32 v60, v12, v23
	v_mul_f16_e32 v61, 0xb3a8, v60
	v_add_f16_e32 v62, v28, v59
	s_mov_b32 s4, 0xbbc4
	v_sub_f16_e32 v70, v13, v10
	v_fma_f16 v69, v62, s4, v61
	v_mul_f16_e32 v71, 0x3770, v70
	v_add_f16_e32 v72, v24, v65
	s_movk_i32 s15, 0x3b15
	v_add_f16_e32 v69, v58, v69
	v_fma_f16 v73, v72, s15, v71
	v_add_f16_e32 v69, v73, v69
	v_sub_f16_e32 v73, v14, v9
	v_mul_f16_e32 v74, 0xb94e, v73
	v_add_f16_e32 v75, v25, v63
	s_mov_b32 s14, 0xb9fd
	v_fma_f16 v76, v75, s14, v74
	v_add_f16_e32 v69, v76, v69
	v_sub_f16_e32 v76, v15, v8
	v_mul_f16_e32 v77, 0x3a95, v76
	v_add_f16_e32 v78, v26, v66
	s_movk_i32 s17, 0x388b
	v_fma_f16 v79, v78, s17, v77
	v_add_f16_e32 v69, v79, v69
	v_sub_f16_e32 v79, v16, v7
	v_mul_f16_e32 v80, 0xbb7b, v79
	v_add_f16_e32 v81, v27, v64
	s_mov_b32 s18, 0xb5ac
	v_fma_f16 v82, v81, s18, v80
	v_add_f16_e32 v69, v82, v69
	v_sub_f16_e32 v82, v17, v18
	v_mul_f16_e32 v83, 0x3bf1, v82
	v_add_f16_e32 v84, v67, v68
	s_movk_i32 s21, 0x2fb7
	v_fma_f16 v85, v84, s21, v83
	v_sub_f16_e32 v86, v59, v28
	v_fma_f16 v61, v62, s4, -v61
	v_add_f16_e32 v69, v85, v69
	v_add_f16_e32 v85, v23, v12
	v_mul_f16_e32 v87, 0xb3a8, v86
	v_sub_f16_e32 v90, v65, v24
	v_add_f16_e32 v61, v58, v61
	v_fma_f16 v71, v72, s15, -v71
	v_fma_f16 v88, v85, s4, -v87
	v_add_f16_e32 v89, v10, v13
	v_mul_f16_e32 v91, 0x3770, v90
	v_add_f16_e32 v61, v71, v61
	v_fma_f16 v71, v75, s14, -v74
	v_add_f16_e32 v88, v11, v88
	v_fma_f16 v92, v89, s15, -v91
	v_sub_f16_e32 v93, v63, v25
	v_add_f16_e32 v61, v71, v61
	v_fma_f16 v71, v78, s17, -v77
	v_add_f16_e32 v88, v92, v88
	v_add_f16_e32 v92, v9, v14
	v_mul_f16_e32 v94, 0xb94e, v93
	v_add_f16_e32 v61, v71, v61
	v_fma_f16 v71, v81, s18, -v80
	v_fma_f16 v95, v92, s14, -v94
	v_sub_f16_e32 v96, v66, v26
	v_add_f16_e32 v61, v71, v61
	v_fma_f16 v71, v84, s21, -v83
	v_add_f16_e32 v88, v95, v88
	v_add_f16_e32 v95, v8, v15
	v_mul_f16_e32 v97, 0x3a95, v96
	v_add_f16_e32 v61, v71, v61
	v_fma_f16 v71, v85, s4, v87
	v_fma_f16 v98, v95, s17, -v97
	v_sub_f16_e32 v99, v64, v27
	v_add_f16_e32 v71, v11, v71
	v_fma_f16 v74, v89, s15, v91
	v_add_f16_e32 v88, v98, v88
	v_add_f16_e32 v98, v7, v16
	v_mul_f16_e32 v100, 0xbb7b, v99
	v_add_f16_e32 v71, v74, v71
	v_fma_f16 v74, v92, s14, v94
	v_fma_f16 v101, v98, s18, -v100
	v_sub_f16_e32 v102, v68, v67
	v_add_f16_e32 v71, v74, v71
	v_fma_f16 v74, v95, s17, v97
	v_add_f16_e32 v88, v101, v88
	v_add_f16_e32 v101, v18, v17
	v_mul_f16_e32 v103, 0x3bf1, v102
	v_add_f16_e32 v71, v74, v71
	v_fma_f16 v74, v98, s18, v100
	v_add_f16_e32 v71, v74, v71
	v_fma_f16 v74, v101, s21, v103
	v_add_f16_e32 v71, v74, v71
	v_mul_f16_e32 v74, 0xb9fd, v62
	s_movk_i32 s26, 0x394e
	v_fma_f16 v77, v60, s26, v74
	v_mul_f16_e32 v80, 0x2fb7, v72
	s_mov_b32 s24, 0xbbf1
	v_add_f16_e32 v77, v58, v77
	v_fma_f16 v83, v70, s24, v80
	s_movk_i32 s23, 0x3a95
	v_add_f16_e32 v77, v83, v77
	v_mul_f16_e32 v83, 0x388b, v75
	v_fma_f16 v87, v73, s23, v83
	s_mov_b32 s5, 0xb3a8
	v_add_f16_e32 v77, v87, v77
	v_mul_f16_e32 v87, 0xbbc4, v78
	v_fma_f16 v91, v76, s5, v87
	v_add_f16_e32 v77, v91, v77
	v_mul_f16_e32 v91, 0x3b15, v81
	s_mov_b32 s25, 0xb770
	v_fma_f16 v94, v79, s25, v91
	v_add_f16_e32 v77, v94, v77
	v_mul_f16_e32 v94, 0xb5ac, v84
	s_movk_i32 s28, 0x3b7b
	v_fma_f16 v97, v82, s28, v94
	v_add_f16_e32 v77, v97, v77
	v_mul_f16_e32 v97, 0xb94e, v86
	v_fma_f16 v104, v101, s21, -v103
	v_fma_f16 v100, v85, s14, v97
	v_mul_f16_e32 v103, 0x3bf1, v90
	v_add_f16_e32 v88, v104, v88
	v_add_f16_e32 v100, v11, v100
	v_fma_f16 v104, v89, s21, v103
	v_add_f16_e32 v100, v104, v100
	v_mul_f16_e32 v104, 0xba95, v93
	v_fma_f16 v105, v92, s17, v104
	v_add_f16_e32 v100, v105, v100
	v_mul_f16_e32 v105, 0x33a8, v96
	;; [unrolled: 3-line block ×5, first 2 shown]
	s_mov_b32 s16, 0xb94e
	v_fma_f16 v109, v60, s28, v108
	v_mul_f16_e32 v110, 0xb9fd, v72
	v_add_f16_e32 v109, v58, v109
	v_fma_f16 v111, v70, s16, v110
	v_add_f16_e32 v109, v111, v109
	v_mul_f16_e32 v111, 0x3b15, v75
	v_fma_f16 v112, v73, s25, v111
	s_movk_i32 s22, 0x3bf1
	v_add_f16_e32 v109, v112, v109
	v_mul_f16_e32 v112, 0x2fb7, v78
	v_fma_f16 v113, v76, s22, v112
	v_add_f16_e32 v109, v113, v109
	v_mul_f16_e32 v113, 0xbbc4, v81
	v_fma_f16 v114, v79, s5, v113
	s_mov_b32 s27, 0xba95
	v_add_f16_e32 v109, v114, v109
	v_mul_f16_e32 v114, 0x388b, v84
	v_fma_f16 v115, v82, s27, v114
	v_add_f16_e32 v12, v12, v11
	v_add_f16_e32 v109, v115, v109
	v_mul_f16_e32 v115, 0xbb7b, v86
	v_add_f16_e32 v12, v13, v12
	v_fma_f16 v116, v85, s18, v115
	v_mul_f16_e32 v117, 0x394e, v90
	v_add_f16_e32 v12, v14, v12
	v_add_f16_e32 v116, v11, v116
	v_fma_f16 v118, v89, s14, v117
	v_add_f16_e32 v12, v15, v12
	v_add_f16_e32 v116, v118, v116
	v_mul_f16_e32 v118, 0x3770, v93
	v_add_f16_e32 v12, v16, v12
	v_fma_f16 v119, v92, s15, v118
	v_add_f16_e32 v12, v17, v12
	v_add_f16_e32 v116, v119, v116
	v_mul_f16_e32 v119, 0xbbf1, v96
	v_add_f16_e32 v12, v18, v12
	v_fma_f16 v120, v95, s21, v119
	v_add_f16_e32 v7, v7, v12
	v_add_f16_e32 v116, v120, v116
	v_mul_f16_e32 v120, 0x33a8, v99
	v_add_f16_e32 v7, v8, v7
	v_fma_f16 v121, v98, s4, v120
	v_add_f16_e32 v7, v9, v7
	v_fma_f16 v9, v60, s16, v74
	v_add_f16_e32 v116, v121, v116
	v_mul_f16_e32 v121, 0x3a95, v102
	v_add_f16_e32 v7, v10, v7
	v_add_f16_e32 v9, v58, v9
	v_fma_f16 v10, v70, s22, v80
	s_movk_i32 s29, 0x33a8
	v_fma_f16 v122, v101, s17, v121
	v_add_f16_e32 v9, v10, v9
	v_fma_f16 v10, v73, s27, v83
	s_movk_i32 s19, 0x3770
	v_add_f16_e32 v116, v122, v116
	v_mul_f16_e32 v122, 0x2fb7, v62
	v_add_f16_e32 v9, v10, v9
	v_fma_f16 v10, v76, s29, v87
	s_mov_b32 s20, 0xbb7b
	v_fma_f16 v123, v60, s22, v122
	v_mul_f16_e32 v124, 0xbbc4, v72
	v_add_f16_e32 v9, v10, v9
	v_fma_f16 v10, v79, s19, v91
	v_add_f16_e32 v123, v58, v123
	v_fma_f16 v125, v70, s29, v124
	;; [unrolled: 2-line block ×3, first 2 shown]
	v_add_f16_e32 v123, v125, v123
	v_mul_f16_e32 v125, 0xb5ac, v75
	v_add_f16_e32 v9, v10, v9
	v_fma_f16 v10, v85, s14, -v97
	v_fma_f16 v126, v73, s20, v125
	v_add_f16_e32 v10, v11, v10
	v_fma_f16 v12, v89, s21, -v103
	v_add_f16_e32 v123, v126, v123
	v_mul_f16_e32 v126, 0x3b15, v78
	v_add_f16_e32 v10, v12, v10
	v_fma_f16 v12, v92, s17, -v104
	v_fma_f16 v127, v76, s25, v126
	v_add_f16_e32 v10, v12, v10
	v_fma_f16 v12, v95, s4, -v105
	;; [unrolled: 7-line block ×3, first 2 shown]
	v_add_f16_e32 v123, v128, v123
	v_mul_f16_e32 v128, 0xb9fd, v84
	v_add_f16_e32 v10, v12, v10
	v_fma_f16 v12, v60, s20, v108
	v_fma_f16 v129, v82, s26, v128
	v_add_f16_e32 v12, v58, v12
	v_fma_f16 v13, v70, s26, v110
	v_add_f16_e32 v123, v129, v123
	v_mul_f16_e32 v129, 0xbbf1, v86
	v_add_f16_e32 v12, v13, v12
	v_fma_f16 v13, v73, s19, v111
	v_fma_f16 v130, v85, s21, v129
	v_mul_f16_e32 v131, 0xb3a8, v90
	v_add_f16_e32 v12, v13, v12
	v_fma_f16 v13, v76, s24, v112
	v_add_f16_e32 v130, v11, v130
	v_fma_f16 v132, v89, s4, v131
	;; [unrolled: 2-line block ×3, first 2 shown]
	v_add_f16_e32 v130, v132, v130
	v_mul_f16_e32 v132, 0x3b7b, v93
	v_add_f16_e32 v12, v13, v12
	v_fma_f16 v13, v82, s23, v114
	v_fma_f16 v133, v92, s18, v132
	v_add_f16_e32 v12, v13, v12
	v_fma_f16 v13, v85, s18, -v115
	v_add_f16_e32 v130, v133, v130
	v_mul_f16_e32 v133, 0x3770, v96
	v_add_f16_e32 v13, v11, v13
	v_fma_f16 v14, v89, s14, -v117
	v_fma_f16 v134, v95, s15, v133
	v_add_f16_e32 v13, v14, v13
	v_fma_f16 v14, v92, s15, -v118
	v_add_f16_e32 v130, v134, v130
	v_mul_f16_e32 v134, 0xba95, v99
	v_add_f16_e32 v13, v14, v13
	v_fma_f16 v14, v95, s21, -v119
	;; [unrolled: 7-line block ×3, first 2 shown]
	v_fma_f16 v136, v101, s14, v135
	v_add_f16_e32 v13, v14, v13
	v_fma_f16 v14, v60, s24, v122
	v_add_f16_e32 v130, v136, v130
	v_mul_f16_e32 v136, 0x388b, v62
	v_add_f16_e32 v14, v58, v14
	v_fma_f16 v15, v70, s5, v124
	v_fma_f16 v137, v60, s23, v136
	v_mul_f16_e32 v138, 0xb5ac, v72
	v_add_f16_e32 v14, v15, v14
	v_fma_f16 v15, v73, s28, v125
	v_add_f16_e32 v137, v58, v137
	v_fma_f16 v139, v70, s28, v138
	;; [unrolled: 2-line block ×3, first 2 shown]
	v_add_f16_e32 v137, v139, v137
	v_mul_f16_e32 v139, 0xbbc4, v75
	v_add_f16_e32 v14, v15, v14
	v_fma_f16 v15, v79, s27, v127
	v_fma_f16 v140, v73, s29, v139
	v_add_f16_e32 v14, v15, v14
	v_fma_f16 v15, v82, s16, v128
	v_add_f16_e32 v137, v140, v137
	v_mul_f16_e32 v140, 0xb9fd, v78
	v_add_f16_e32 v14, v15, v14
	v_fma_f16 v15, v85, s21, -v129
	v_fma_f16 v141, v76, s16, v140
	v_add_f16_e32 v15, v11, v15
	v_fma_f16 v16, v89, s4, -v131
	v_add_f16_e32 v137, v141, v137
	v_mul_f16_e32 v141, 0x2fb7, v81
	v_add_f16_e32 v15, v16, v15
	v_fma_f16 v16, v92, s18, -v132
	v_fma_f16 v142, v79, s24, v141
	v_add_f16_e32 v15, v16, v15
	v_fma_f16 v16, v95, s15, -v133
	;; [unrolled: 7-line block ×3, first 2 shown]
	v_add_f16_e32 v137, v143, v137
	v_mul_f16_e32 v143, 0xba95, v86
	v_add_f16_e32 v15, v16, v15
	v_fma_f16 v16, v60, s27, v136
	v_fma_f16 v144, v85, s17, v143
	v_mul_f16_e32 v145, 0xbb7b, v90
	v_add_f16_e32 v16, v58, v16
	v_fma_f16 v17, v70, s20, v138
	v_add_f16_e32 v144, v11, v144
	v_fma_f16 v146, v89, s18, v145
	;; [unrolled: 2-line block ×3, first 2 shown]
	v_add_f16_e32 v144, v146, v144
	v_mul_f16_e32 v146, 0xb3a8, v93
	v_add_f16_e32 v16, v17, v16
	v_fma_f16 v17, v76, s26, v140
	v_fma_f16 v147, v92, s4, v146
	v_add_f16_e32 v16, v17, v16
	v_fma_f16 v17, v79, s22, v141
	v_add_f16_e32 v144, v147, v144
	v_mul_f16_e32 v147, 0x394e, v96
	v_add_f16_e32 v16, v17, v16
	v_fma_f16 v17, v82, s19, v142
	v_fma_f16 v148, v95, s14, v147
	v_add_f16_e32 v16, v17, v16
	v_fma_f16 v17, v85, s17, -v143
	v_add_f16_e32 v144, v148, v144
	v_mul_f16_e32 v148, 0x3bf1, v99
	v_add_f16_e32 v17, v11, v17
	v_fma_f16 v18, v89, s18, -v145
	v_fma_f16 v149, v98, s21, v148
	v_add_f16_e32 v17, v18, v17
	v_fma_f16 v18, v92, s4, -v146
	v_add_f16_e32 v144, v149, v144
	v_mul_f16_e32 v149, 0x3770, v102
	v_add_f16_e32 v17, v18, v17
	v_fma_f16 v18, v95, s14, -v147
	v_fma_f16 v150, v101, s15, v149
	v_mul_f16_e32 v62, 0x3b15, v62
	v_add_f16_e32 v17, v18, v17
	v_fma_f16 v18, v98, s21, -v148
	v_add_f16_e32 v144, v150, v144
	v_fma_f16 v150, v60, s19, v62
	v_mul_f16_e32 v72, 0x388b, v72
	v_add_f16_e32 v17, v18, v17
	v_fma_f16 v18, v101, s15, -v149
	v_add_f16_e32 v150, v58, v150
	v_fma_f16 v151, v70, s23, v72
	v_mul_f16_e32 v75, 0x2fb7, v75
	v_add_f16_e32 v8, v59, v58
	v_add_f16_e32 v17, v18, v17
	v_fma_f16 v18, v60, s25, v62
	v_add_f16_e32 v150, v151, v150
	v_fma_f16 v151, v73, s22, v75
	v_mul_f16_e32 v78, 0xb5ac, v78
	v_add_f16_e32 v7, v23, v7
	v_add_f16_e32 v8, v65, v8
	;; [unrolled: 1-line block ×3, first 2 shown]
	v_fma_f16 v23, v70, s27, v72
	v_add_f16_e32 v150, v151, v150
	v_fma_f16 v151, v76, s28, v78
	v_mul_f16_e32 v81, 0xb9fd, v81
	v_add_f16_e32 v8, v63, v8
	v_add_f16_e32 v18, v23, v18
	v_fma_f16 v23, v73, s24, v75
	v_add_f16_e32 v150, v151, v150
	v_fma_f16 v151, v79, s26, v81
	v_mul_f16_e32 v84, 0xbbc4, v84
	v_add_f16_e32 v8, v66, v8
	v_add_f16_e32 v18, v23, v18
	;; [unrolled: 6-line block ×5, first 2 shown]
	v_fma_f16 v23, v85, s15, -v86
	v_add_f16_e32 v151, v152, v151
	v_fma_f16 v152, v92, s21, v93
	v_mul_f16_e32 v96, 0xbb7b, v96
	v_add_f16_e32 v8, v27, v8
	v_add_f16_e32 v11, v11, v23
	v_fma_f16 v23, v89, s17, -v90
	v_add_f16_e32 v151, v152, v151
	v_fma_f16 v152, v95, s18, v96
	v_mul_f16_e32 v99, 0xb94e, v99
	v_add_f16_e32 v8, v26, v8
	v_add_f16_e32 v11, v23, v11
	;; [unrolled: 6-line block ×3, first 2 shown]
	v_fma_f16 v23, v95, s18, -v96
	v_add_f16_e32 v151, v152, v151
	v_fma_f16 v152, v101, s4, v102
	v_add_f16_e32 v8, v24, v8
	v_add_f16_e32 v11, v23, v11
	v_fma_f16 v23, v98, s14, -v99
	v_add_f16_e32 v151, v152, v151
	v_add_f16_e32 v8, v28, v8
	;; [unrolled: 1-line block ×3, first 2 shown]
	v_fma_f16 v23, v101, s4, -v102
	v_add_f16_e32 v11, v23, v11
	v_lshlrev_b32_e32 v22, 2, v22
	v_pack_b32_f16 v23, v151, v150
	v_pack_b32_f16 v7, v7, v8
	ds_write2_b32 v22, v7, v23 offset1:1
	v_pack_b32_f16 v7, v130, v123
	v_pack_b32_f16 v8, v144, v137
	ds_write2_b32 v22, v8, v7 offset0:2 offset1:3
	v_pack_b32_f16 v7, v100, v77
	v_pack_b32_f16 v8, v116, v109
	ds_write2_b32 v22, v8, v7 offset0:4 offset1:5
	;; [unrolled: 3-line block ×5, first 2 shown]
	v_pack_b32_f16 v7, v11, v18
	ds_write_b32 v22, v7 offset:48
.LBB0_13:
	s_or_b64 exec, exec, s[2:3]
	v_add_u32_e32 v15, 0xd00, v21
	s_waitcnt lgkmcnt(0)
	s_barrier
	ds_read2_b32 v[9:10], v15 offset1:208
	v_add_u32_e32 v18, 0x1300, v21
	ds_read2_b32 v[13:14], v18 offset0:32 offset1:240
	ds_read2_b32 v[7:8], v21 offset1:208
	v_add_u32_e32 v17, 0x600, v21
	s_waitcnt lgkmcnt(2)
	v_lshrrev_b32_e32 v22, 16, v9
	v_mul_f16_sdwa v58, v32, v22 dst_sel:DWORD dst_unused:UNUSED_PAD src0_sel:WORD_1 src1_sel:DWORD
	v_lshrrev_b32_e32 v24, 16, v10
	v_fma_f16 v58, v32, v9, v58
	v_mul_f16_sdwa v9, v32, v9 dst_sel:DWORD dst_unused:UNUSED_PAD src0_sel:WORD_1 src1_sel:DWORD
	v_fma_f16 v9, v32, v22, -v9
	v_mul_f16_sdwa v22, v31, v24 dst_sel:DWORD dst_unused:UNUSED_PAD src0_sel:WORD_1 src1_sel:DWORD
	s_waitcnt lgkmcnt(1)
	v_lshrrev_b32_e32 v26, 16, v13
	v_fma_f16 v22, v31, v10, v22
	v_mul_f16_sdwa v10, v31, v10 dst_sel:DWORD dst_unused:UNUSED_PAD src0_sel:WORD_1 src1_sel:DWORD
	ds_read2_b32 v[11:12], v17 offset0:32 offset1:240
	v_fma_f16 v10, v31, v24, -v10
	v_mul_f16_sdwa v24, v30, v26 dst_sel:DWORD dst_unused:UNUSED_PAD src0_sel:WORD_1 src1_sel:DWORD
	v_lshrrev_b32_e32 v28, 16, v14
	v_fma_f16 v24, v30, v13, v24
	v_mul_f16_sdwa v13, v30, v13 dst_sel:DWORD dst_unused:UNUSED_PAD src0_sel:WORD_1 src1_sel:DWORD
	v_fma_f16 v13, v30, v26, -v13
	v_mul_f16_sdwa v26, v29, v28 dst_sel:DWORD dst_unused:UNUSED_PAD src0_sel:WORD_1 src1_sel:DWORD
	s_waitcnt lgkmcnt(1)
	v_lshrrev_b32_e32 v16, 16, v7
	v_fma_f16 v26, v29, v14, v26
	v_mul_f16_sdwa v14, v29, v14 dst_sel:DWORD dst_unused:UNUSED_PAD src0_sel:WORD_1 src1_sel:DWORD
	v_lshrrev_b32_e32 v23, 16, v8
	v_fma_f16 v14, v29, v28, -v14
	v_sub_f16_e32 v28, v7, v58
	v_sub_f16_e32 v9, v16, v9
	s_waitcnt lgkmcnt(0)
	v_lshrrev_b32_e32 v25, 16, v11
	v_fma_f16 v7, v7, 2.0, -v28
	v_fma_f16 v16, v16, 2.0, -v9
	v_sub_f16_e32 v22, v8, v22
	v_sub_f16_e32 v10, v23, v10
	v_lshrrev_b32_e32 v27, 16, v12
	v_fma_f16 v8, v8, 2.0, -v22
	v_fma_f16 v23, v23, 2.0, -v10
	v_sub_f16_e32 v24, v11, v24
	v_sub_f16_e32 v13, v25, v13
	v_pack_b32_f16 v7, v7, v16
	v_pack_b32_f16 v9, v28, v9
	v_fma_f16 v11, v11, 2.0, -v24
	v_fma_f16 v25, v25, 2.0, -v13
	v_sub_f16_e32 v26, v12, v26
	v_sub_f16_e32 v14, v27, v14
	s_barrier
	ds_write2_b32 v33, v7, v9 offset1:13
	v_pack_b32_f16 v7, v8, v23
	v_pack_b32_f16 v8, v22, v10
	v_fma_f16 v12, v12, 2.0, -v26
	v_fma_f16 v27, v27, 2.0, -v14
	ds_write2_b32 v34, v7, v8 offset1:13
	v_pack_b32_f16 v7, v11, v25
	v_pack_b32_f16 v8, v24, v13
	ds_write2_b32 v35, v7, v8 offset1:13
	v_pack_b32_f16 v7, v12, v27
	v_pack_b32_f16 v8, v26, v14
	ds_write2_b32 v36, v7, v8 offset1:13
	s_waitcnt lgkmcnt(0)
	s_barrier
	ds_read2_b32 v[7:8], v21 offset1:208
	ds_read2_b32 v[9:10], v15 offset1:208
	ds_read2_b32 v[11:12], v17 offset0:32 offset1:240
	ds_read2_b32 v[13:14], v18 offset0:32 offset1:240
	s_waitcnt lgkmcnt(0)
	s_barrier
	v_lshrrev_b32_e32 v16, 16, v7
	v_lshrrev_b32_e32 v22, 16, v9
	v_mul_f16_sdwa v29, v40, v22 dst_sel:DWORD dst_unused:UNUSED_PAD src0_sel:WORD_1 src1_sel:DWORD
	v_lshrrev_b32_e32 v24, 16, v10
	v_fma_f16 v29, v40, v9, v29
	v_mul_f16_sdwa v9, v40, v9 dst_sel:DWORD dst_unused:UNUSED_PAD src0_sel:WORD_1 src1_sel:DWORD
	v_fma_f16 v9, v40, v22, -v9
	v_mul_f16_sdwa v22, v39, v24 dst_sel:DWORD dst_unused:UNUSED_PAD src0_sel:WORD_1 src1_sel:DWORD
	v_lshrrev_b32_e32 v26, 16, v13
	v_fma_f16 v22, v39, v10, v22
	v_mul_f16_sdwa v10, v39, v10 dst_sel:DWORD dst_unused:UNUSED_PAD src0_sel:WORD_1 src1_sel:DWORD
	v_fma_f16 v10, v39, v24, -v10
	;; [unrolled: 5-line block ×3, first 2 shown]
	v_mul_f16_sdwa v26, v37, v28 dst_sel:DWORD dst_unused:UNUSED_PAD src0_sel:WORD_1 src1_sel:DWORD
	v_fma_f16 v26, v37, v14, v26
	v_mul_f16_sdwa v14, v37, v14 dst_sel:DWORD dst_unused:UNUSED_PAD src0_sel:WORD_1 src1_sel:DWORD
	v_lshrrev_b32_e32 v23, 16, v8
	v_fma_f16 v14, v37, v28, -v14
	v_sub_f16_e32 v28, v7, v29
	v_sub_f16_e32 v9, v16, v9
	v_lshrrev_b32_e32 v25, 16, v11
	v_fma_f16 v7, v7, 2.0, -v28
	v_fma_f16 v16, v16, 2.0, -v9
	v_sub_f16_e32 v22, v8, v22
	v_sub_f16_e32 v10, v23, v10
	v_lshrrev_b32_e32 v27, 16, v12
	v_fma_f16 v8, v8, 2.0, -v22
	v_fma_f16 v23, v23, 2.0, -v10
	v_sub_f16_e32 v24, v11, v24
	v_sub_f16_e32 v13, v25, v13
	v_pack_b32_f16 v7, v7, v16
	v_pack_b32_f16 v9, v28, v9
	v_fma_f16 v11, v11, 2.0, -v24
	v_fma_f16 v25, v25, 2.0, -v13
	v_sub_f16_e32 v26, v12, v26
	v_sub_f16_e32 v14, v27, v14
	ds_write2_b32 v41, v7, v9 offset1:26
	v_pack_b32_f16 v7, v8, v23
	v_pack_b32_f16 v8, v22, v10
	v_fma_f16 v12, v12, 2.0, -v26
	v_fma_f16 v27, v27, 2.0, -v14
	ds_write2_b32 v42, v7, v8 offset1:26
	v_pack_b32_f16 v7, v11, v25
	v_pack_b32_f16 v8, v24, v13
	ds_write2_b32 v43, v7, v8 offset1:26
	v_pack_b32_f16 v7, v12, v27
	v_pack_b32_f16 v8, v26, v14
	ds_write2_b32 v44, v7, v8 offset1:26
	s_waitcnt lgkmcnt(0)
	s_barrier
	ds_read2_b32 v[7:8], v21 offset1:208
	ds_read2_b32 v[9:10], v17 offset0:32 offset1:240
	ds_read2_b32 v[11:12], v15 offset1:208
	ds_read2_b32 v[13:14], v18 offset0:32 offset1:240
	s_waitcnt lgkmcnt(0)
	v_lshrrev_b32_e32 v16, 16, v7
	v_lshrrev_b32_e32 v22, 16, v9
	v_mul_f16_sdwa v29, v0, v22 dst_sel:DWORD dst_unused:UNUSED_PAD src0_sel:WORD_1 src1_sel:DWORD
	v_lshrrev_b32_e32 v23, 16, v11
	v_fma_f16 v29, v0, v9, v29
	v_mul_f16_sdwa v9, v0, v9 dst_sel:DWORD dst_unused:UNUSED_PAD src0_sel:WORD_1 src1_sel:DWORD
	v_fma_f16 v0, v0, v22, -v9
	v_mul_f16_sdwa v9, v1, v23 dst_sel:DWORD dst_unused:UNUSED_PAD src0_sel:WORD_1 src1_sel:DWORD
	v_lshrrev_b32_e32 v24, 16, v13
	v_fma_f16 v9, v1, v11, v9
	v_mul_f16_sdwa v11, v1, v11 dst_sel:DWORD dst_unused:UNUSED_PAD src0_sel:WORD_1 src1_sel:DWORD
	v_fma_f16 v1, v1, v23, -v11
	;; [unrolled: 5-line block ×5, first 2 shown]
	v_mul_f16_sdwa v12, v5, v28 dst_sel:DWORD dst_unused:UNUSED_PAD src0_sel:WORD_1 src1_sel:DWORD
	v_fma_f16 v12, v5, v14, v12
	v_mul_f16_sdwa v14, v5, v14 dst_sel:DWORD dst_unused:UNUSED_PAD src0_sel:WORD_1 src1_sel:DWORD
	v_sub_f16_e32 v9, v7, v9
	v_sub_f16_e32 v1, v16, v1
	;; [unrolled: 1-line block ×4, first 2 shown]
	v_lshrrev_b32_e32 v25, 16, v8
	v_fma_f16 v5, v5, v28, -v14
	v_fma_f16 v7, v7, 2.0, -v9
	v_fma_f16 v14, v16, 2.0, -v1
	;; [unrolled: 1-line block ×4, first 2 shown]
	v_sub_f16_e32 v16, v7, v16
	v_sub_f16_e32 v0, v14, v0
	v_add_f16_e32 v2, v9, v2
	v_sub_f16_e32 v11, v1, v11
	v_sub_f16_e32 v10, v8, v10
	;; [unrolled: 1-line block ×5, first 2 shown]
	v_fma_f16 v7, v7, 2.0, -v16
	v_fma_f16 v14, v14, 2.0, -v0
	;; [unrolled: 1-line block ×8, first 2 shown]
	v_sub_f16_e32 v13, v8, v13
	v_sub_f16_e32 v3, v22, v3
	v_add_f16_e32 v5, v10, v5
	v_sub_f16_e32 v12, v4, v12
	v_pack_b32_f16 v7, v7, v14
	v_pack_b32_f16 v1, v9, v1
	v_fma_f16 v8, v8, 2.0, -v13
	v_fma_f16 v22, v22, 2.0, -v3
	;; [unrolled: 1-line block ×4, first 2 shown]
	s_barrier
	ds_write2_b32 v47, v7, v1 offset1:52
	v_pack_b32_f16 v0, v16, v0
	v_pack_b32_f16 v1, v2, v11
	ds_write2_b32 v47, v0, v1 offset0:104 offset1:156
	v_pack_b32_f16 v0, v8, v22
	v_pack_b32_f16 v1, v10, v4
	ds_write2_b32 v48, v0, v1 offset1:52
	v_pack_b32_f16 v0, v13, v3
	v_pack_b32_f16 v1, v5, v12
	ds_write2_b32 v48, v0, v1 offset0:104 offset1:156
	s_waitcnt lgkmcnt(0)
	s_barrier
	ds_read2_b32 v[0:1], v21 offset1:208
	ds_read2_b32 v[2:3], v15 offset1:208
	ds_read2_b32 v[4:5], v17 offset0:32 offset1:240
	ds_read2_b32 v[7:8], v18 offset0:32 offset1:240
	s_waitcnt lgkmcnt(0)
	s_barrier
	v_lshrrev_b32_e32 v9, 16, v0
	v_lshrrev_b32_e32 v10, 16, v2
	v_mul_f16_sdwa v23, v50, v10 dst_sel:DWORD dst_unused:UNUSED_PAD src0_sel:WORD_1 src1_sel:DWORD
	v_lshrrev_b32_e32 v12, 16, v3
	v_fma_f16 v23, v50, v2, v23
	v_mul_f16_sdwa v2, v50, v2 dst_sel:DWORD dst_unused:UNUSED_PAD src0_sel:WORD_1 src1_sel:DWORD
	v_fma_f16 v2, v50, v10, -v2
	v_mul_f16_sdwa v10, v50, v12 dst_sel:DWORD dst_unused:UNUSED_PAD src0_sel:WORD_1 src1_sel:DWORD
	v_lshrrev_b32_e32 v14, 16, v7
	v_fma_f16 v10, v50, v3, v10
	v_mul_f16_sdwa v3, v50, v3 dst_sel:DWORD dst_unused:UNUSED_PAD src0_sel:WORD_1 src1_sel:DWORD
	v_fma_f16 v3, v50, v12, -v3
	;; [unrolled: 5-line block ×3, first 2 shown]
	v_mul_f16_sdwa v14, v51, v22 dst_sel:DWORD dst_unused:UNUSED_PAD src0_sel:WORD_1 src1_sel:DWORD
	v_fma_f16 v14, v51, v8, v14
	v_mul_f16_sdwa v8, v51, v8 dst_sel:DWORD dst_unused:UNUSED_PAD src0_sel:WORD_1 src1_sel:DWORD
	v_lshrrev_b32_e32 v11, 16, v1
	v_fma_f16 v8, v51, v22, -v8
	v_sub_f16_e32 v22, v0, v23
	v_sub_f16_e32 v2, v9, v2
	v_lshrrev_b32_e32 v13, 16, v4
	v_fma_f16 v0, v0, 2.0, -v22
	v_fma_f16 v9, v9, 2.0, -v2
	v_sub_f16_e32 v10, v1, v10
	v_sub_f16_e32 v3, v11, v3
	v_lshrrev_b32_e32 v16, 16, v5
	v_fma_f16 v1, v1, 2.0, -v10
	v_fma_f16 v11, v11, 2.0, -v3
	v_sub_f16_e32 v12, v4, v12
	v_sub_f16_e32 v7, v13, v7
	v_pack_b32_f16 v0, v0, v9
	v_pack_b32_f16 v2, v22, v2
	v_fma_f16 v4, v4, 2.0, -v12
	v_fma_f16 v13, v13, 2.0, -v7
	v_sub_f16_e32 v14, v5, v14
	v_sub_f16_e32 v8, v16, v8
	ds_write2_b32 v21, v0, v2 offset1:208
	v_pack_b32_f16 v0, v1, v11
	v_pack_b32_f16 v1, v10, v3
	v_fma_f16 v5, v5, 2.0, -v14
	v_fma_f16 v16, v16, 2.0, -v8
	ds_write2_b32 v17, v0, v1 offset0:32 offset1:240
	v_pack_b32_f16 v0, v4, v13
	v_pack_b32_f16 v1, v12, v7
	v_add_u32_e32 v2, 0xd00, v45
	ds_write2_b32 v2, v0, v1 offset1:208
	v_pack_b32_f16 v0, v5, v16
	v_pack_b32_f16 v1, v14, v8
	v_add_u32_e32 v2, 0x1300, v46
	ds_write2_b32 v2, v0, v1 offset0:32 offset1:240
	s_waitcnt lgkmcnt(0)
	s_barrier
	ds_read2_b32 v[0:1], v21 offset1:208
	ds_read2_b32 v[2:3], v15 offset1:208
	ds_read2_b32 v[4:5], v17 offset0:32 offset1:240
	ds_read2_b32 v[7:8], v18 offset0:32 offset1:240
	s_waitcnt lgkmcnt(0)
	s_barrier
	v_lshrrev_b32_e32 v9, 16, v0
	v_lshrrev_b32_e32 v10, 16, v2
	v_mul_f16_sdwa v23, v52, v10 dst_sel:DWORD dst_unused:UNUSED_PAD src0_sel:WORD_1 src1_sel:DWORD
	v_lshrrev_b32_e32 v12, 16, v3
	v_fma_f16 v23, v52, v2, v23
	v_mul_f16_sdwa v2, v52, v2 dst_sel:DWORD dst_unused:UNUSED_PAD src0_sel:WORD_1 src1_sel:DWORD
	v_fma_f16 v2, v52, v10, -v2
	v_mul_f16_sdwa v10, v53, v12 dst_sel:DWORD dst_unused:UNUSED_PAD src0_sel:WORD_1 src1_sel:DWORD
	v_lshrrev_b32_e32 v14, 16, v7
	v_fma_f16 v10, v53, v3, v10
	v_mul_f16_sdwa v3, v53, v3 dst_sel:DWORD dst_unused:UNUSED_PAD src0_sel:WORD_1 src1_sel:DWORD
	v_fma_f16 v3, v53, v12, -v3
	;; [unrolled: 5-line block ×4, first 2 shown]
	v_sub_f16_e32 v22, v0, v23
	v_sub_f16_e32 v2, v9, v2
	;; [unrolled: 1-line block ×4, first 2 shown]
	v_lshrrev_b32_e32 v13, 16, v4
	v_lshrrev_b32_e32 v16, 16, v5
	v_fma_f16 v0, v0, 2.0, -v22
	v_fma_f16 v9, v9, 2.0, -v2
	v_fma_f16 v1, v1, 2.0, -v10
	v_fma_f16 v11, v11, 2.0, -v3
	v_sub_f16_e32 v12, v4, v12
	v_sub_f16_e32 v7, v13, v7
	;; [unrolled: 1-line block ×4, first 2 shown]
	v_pack_b32_f16 v0, v0, v9
	v_pack_b32_f16 v1, v1, v11
	v_fma_f16 v4, v4, 2.0, -v12
	v_fma_f16 v13, v13, 2.0, -v7
	;; [unrolled: 1-line block ×4, first 2 shown]
	v_pack_b32_f16 v2, v22, v2
	ds_write2_b32 v21, v0, v1 offset1:208
	v_pack_b32_f16 v0, v10, v3
	ds_write2_b32 v17, v2, v0 offset0:32 offset1:240
	v_pack_b32_f16 v0, v4, v13
	v_pack_b32_f16 v2, v5, v16
	;; [unrolled: 1-line block ×3, first 2 shown]
	ds_write2_b32 v15, v0, v2 offset1:208
	v_pack_b32_f16 v0, v14, v8
	ds_write2_b32 v18, v1, v0 offset0:32 offset1:240
	s_waitcnt lgkmcnt(0)
	s_barrier
	ds_read2_b32 v[0:1], v21 offset1:208
	ds_read2_b32 v[2:3], v15 offset1:208
	ds_read2_b32 v[4:5], v17 offset0:32 offset1:240
	ds_read2_b32 v[7:8], v18 offset0:32 offset1:240
	s_waitcnt lgkmcnt(3)
	v_lshrrev_b32_e32 v9, 16, v0
	s_waitcnt lgkmcnt(2)
	v_lshrrev_b32_e32 v10, 16, v2
	v_mul_f16_sdwa v23, v54, v10 dst_sel:DWORD dst_unused:UNUSED_PAD src0_sel:WORD_1 src1_sel:DWORD
	v_lshrrev_b32_e32 v12, 16, v3
	v_fma_f16 v23, v54, v2, v23
	v_mul_f16_sdwa v2, v54, v2 dst_sel:DWORD dst_unused:UNUSED_PAD src0_sel:WORD_1 src1_sel:DWORD
	v_fma_f16 v2, v54, v10, -v2
	v_mul_f16_sdwa v10, v55, v12 dst_sel:DWORD dst_unused:UNUSED_PAD src0_sel:WORD_1 src1_sel:DWORD
	s_waitcnt lgkmcnt(0)
	v_lshrrev_b32_e32 v14, 16, v7
	v_fma_f16 v10, v55, v3, v10
	v_mul_f16_sdwa v3, v55, v3 dst_sel:DWORD dst_unused:UNUSED_PAD src0_sel:WORD_1 src1_sel:DWORD
	v_fma_f16 v3, v55, v12, -v3
	v_mul_f16_sdwa v12, v56, v14 dst_sel:DWORD dst_unused:UNUSED_PAD src0_sel:WORD_1 src1_sel:DWORD
	v_lshrrev_b32_e32 v22, 16, v8
	v_fma_f16 v12, v56, v7, v12
	v_mul_f16_sdwa v7, v56, v7 dst_sel:DWORD dst_unused:UNUSED_PAD src0_sel:WORD_1 src1_sel:DWORD
	v_fma_f16 v7, v56, v14, -v7
	v_mul_f16_sdwa v14, v57, v22 dst_sel:DWORD dst_unused:UNUSED_PAD src0_sel:WORD_1 src1_sel:DWORD
	v_lshrrev_b32_e32 v11, 16, v1
	v_fma_f16 v14, v57, v8, v14
	v_mul_f16_sdwa v8, v57, v8 dst_sel:DWORD dst_unused:UNUSED_PAD src0_sel:WORD_1 src1_sel:DWORD
	v_fma_f16 v8, v57, v22, -v8
	v_sub_f16_e32 v22, v0, v23
	v_sub_f16_e32 v2, v9, v2
	;; [unrolled: 1-line block ×4, first 2 shown]
	v_lshrrev_b32_e32 v13, 16, v4
	v_lshrrev_b32_e32 v16, 16, v5
	v_fma_f16 v0, v0, 2.0, -v22
	v_fma_f16 v9, v9, 2.0, -v2
	v_fma_f16 v1, v1, 2.0, -v10
	v_fma_f16 v11, v11, 2.0, -v3
	v_sub_f16_e32 v12, v4, v12
	v_sub_f16_e32 v7, v13, v7
	;; [unrolled: 1-line block ×4, first 2 shown]
	v_pack_b32_f16 v0, v0, v9
	v_pack_b32_f16 v1, v1, v11
	v_fma_f16 v4, v4, 2.0, -v12
	v_fma_f16 v13, v13, 2.0, -v7
	;; [unrolled: 1-line block ×4, first 2 shown]
	v_pack_b32_f16 v2, v22, v2
	ds_write2_b32 v21, v0, v1 offset1:208
	v_pack_b32_f16 v0, v10, v3
	ds_write2_b32 v15, v2, v0 offset1:208
	v_pack_b32_f16 v0, v4, v13
	v_pack_b32_f16 v2, v5, v16
	v_pack_b32_f16 v1, v12, v7
	ds_write2_b32 v17, v0, v2 offset0:32 offset1:240
	v_pack_b32_f16 v0, v14, v8
	ds_write2_b32 v18, v1, v0 offset0:32 offset1:240
	s_waitcnt lgkmcnt(0)
	s_barrier
	s_and_b64 exec, exec, s[0:1]
	s_cbranch_execz .LBB0_15
; %bb.14:
	global_load_dword v11, v19, s[6:7]
	ds_read_b32 v12, v21
	global_load_dword v9, v19, s[6:7] offset:512
	global_load_dword v10, v19, s[6:7] offset:1024
	v_or_b32_e32 v3, 0x400, v20
	v_or_b32_e32 v4, 0x480, v20
	;; [unrolled: 1-line block ×5, first 2 shown]
	v_lshlrev_b32_e32 v18, 2, v3
	v_lshlrev_b32_e32 v21, 2, v4
	;; [unrolled: 1-line block ×5, first 2 shown]
	global_load_dword v17, v18, s[6:7]
	global_load_dword v16, v21, s[6:7]
	;; [unrolled: 1-line block ×5, first 2 shown]
	s_waitcnt lgkmcnt(0)
	v_lshrrev_b32_e32 v18, 16, v12
	s_mov_b32 s14, 0x13b13b14
	s_mov_b32 s15, 0x3f43b13b
	v_mad_u64_u32 v[0:1], s[0:1], s10, v6, 0
	v_mov_b32_e32 v2, 0x7c00
	s_movk_i32 s16, 0x1ff
	v_mad_u64_u32 v[25:26], s[0:1], s11, v6, v[1:2]
	s_movk_i32 s17, 0xffe
	s_movk_i32 s10, 0x40f
	v_mov_b32_e32 v1, v25
	s_mov_b32 s11, 0x8000
	v_lshlrev_b64 v[0:1], 2, v[0:1]
	s_waitcnt vmcnt(7)
	v_mul_f16_sdwa v21, v18, v11 dst_sel:DWORD dst_unused:UNUSED_PAD src0_sel:DWORD src1_sel:WORD_1
	v_fma_f16 v21, v12, v11, v21
	v_mul_f16_sdwa v12, v12, v11 dst_sel:DWORD dst_unused:UNUSED_PAD src0_sel:DWORD src1_sel:WORD_1
	v_cvt_f32_f16_e32 v21, v21
	v_fma_f16 v11, v11, v18, -v12
	v_cvt_f32_f16_e32 v18, v11
	v_cvt_f64_f32_e32 v[11:12], v21
	v_mad_u64_u32 v[21:22], s[0:1], s8, v20, 0
	v_cvt_f64_f32_e32 v[23:24], v18
	v_mul_f64 v[11:12], v[11:12], s[14:15]
	v_mov_b32_e32 v6, v22
	v_mul_f64 v[23:24], v[23:24], s[14:15]
	v_and_or_b32 v11, v12, s16, v11
	v_cmp_ne_u32_e32 vcc, 0, v11
	v_lshrrev_b32_e32 v18, 8, v12
	v_and_or_b32 v23, v24, s16, v23
	v_bfe_u32 v22, v12, 20, 11
	v_cndmask_b32_e64 v11, 0, 1, vcc
	v_cmp_ne_u32_e32 vcc, 0, v23
	v_lshrrev_b32_e32 v25, 8, v24
	v_bfe_u32 v26, v24, 20, 11
	v_sub_u32_e32 v27, 0x3f1, v22
	v_cndmask_b32_e64 v23, 0, 1, vcc
	v_and_or_b32 v11, v18, s17, v11
	v_sub_u32_e32 v28, 0x3f1, v26
	v_med3_i32 v18, v27, 0, 13
	v_and_or_b32 v23, v25, s17, v23
	v_or_b32_e32 v27, 0x1000, v11
	v_add_u32_e32 v22, 0xfffffc10, v22
	v_med3_i32 v25, v28, 0, 13
	v_cmp_ne_u32_e32 vcc, 0, v11
	v_or_b32_e32 v29, 0x1000, v23
	v_lshrrev_b32_e32 v31, v18, v27
	v_add_u32_e32 v26, 0xfffffc10, v26
	v_lshl_or_b32 v28, v22, 12, v11
	v_cndmask_b32_e64 v11, 0, 1, vcc
	v_cmp_ne_u32_e32 vcc, 0, v23
	v_lshrrev_b32_e32 v32, v25, v29
	v_lshlrev_b32_e32 v18, v18, v31
	v_lshl_or_b32 v30, v26, 12, v23
	v_cndmask_b32_e64 v23, 0, 1, vcc
	v_lshlrev_b32_e32 v25, v25, v32
	v_cmp_ne_u32_e32 vcc, v18, v27
	v_cndmask_b32_e64 v18, 0, 1, vcc
	v_cmp_ne_u32_e32 vcc, v25, v29
	v_cndmask_b32_e64 v25, 0, 1, vcc
	v_or_b32_e32 v18, v31, v18
	v_cmp_gt_i32_e32 vcc, 1, v22
	v_cndmask_b32_e32 v18, v28, v18, vcc
	v_or_b32_e32 v25, v32, v25
	v_cmp_gt_i32_e32 vcc, 1, v26
	v_and_b32_e32 v27, 7, v18
	v_cndmask_b32_e32 v25, v30, v25, vcc
	v_cmp_lt_i32_e32 vcc, 5, v27
	v_cmp_eq_u32_e64 s[0:1], 3, v27
	v_lshrrev_b32_e32 v18, 2, v18
	v_and_b32_e32 v28, 7, v25
	s_or_b64 vcc, s[0:1], vcc
	v_cmp_lt_i32_e64 s[2:3], 5, v28
	v_cmp_eq_u32_e64 s[4:5], 3, v28
	v_addc_co_u32_e32 v18, vcc, 0, v18, vcc
	v_lshrrev_b32_e32 v25, 2, v25
	s_or_b64 vcc, s[4:5], s[2:3]
	v_addc_co_u32_e32 v25, vcc, 0, v25, vcc
	v_cmp_gt_i32_e32 vcc, 31, v22
	v_cndmask_b32_e32 v18, v2, v18, vcc
	v_cmp_gt_i32_e32 vcc, 31, v26
	v_lshl_or_b32 v11, v11, 9, v2
	v_cndmask_b32_e32 v25, v2, v25, vcc
	v_cmp_eq_u32_e32 vcc, s10, v22
	v_lshl_or_b32 v23, v23, 9, v2
	v_cndmask_b32_e32 v11, v18, v11, vcc
	v_cmp_eq_u32_e32 vcc, s10, v26
	v_cndmask_b32_e32 v18, v25, v23, vcc
	ds_read2st64_b32 v[25:26], v19 offset0:2 offset1:4
	v_lshrrev_b32_e32 v12, 16, v12
	v_and_or_b32 v23, v12, s11, v11
	v_mad_u64_u32 v[11:12], s[0:1], s9, v20, v[6:7]
	v_lshrrev_b32_e32 v6, 16, v24
	v_and_or_b32 v6, v6, s11, v18
	s_waitcnt lgkmcnt(0)
	v_lshrrev_b32_e32 v18, 16, v25
	s_waitcnt vmcnt(6)
	v_mul_f16_sdwa v12, v18, v9 dst_sel:DWORD dst_unused:UNUSED_PAD src0_sel:DWORD src1_sel:WORD_1
	v_fma_f16 v12, v25, v9, v12
	v_cvt_f32_f16_e32 v12, v12
	v_mov_b32_e32 v22, v11
	v_and_b32_e32 v11, 0xffff, v23
	v_lshl_or_b32 v6, v6, 16, v11
	v_cvt_f64_f32_e32 v[11:12], v12
	v_mov_b32_e32 v23, s13
	v_add_co_u32_e32 v0, vcc, s12, v0
	v_mul_f64 v[11:12], v[11:12], s[14:15]
	v_lshlrev_b64 v[21:22], 2, v[21:22]
	v_addc_co_u32_e32 v1, vcc, v23, v1, vcc
	v_add_co_u32_e32 v21, vcc, v0, v21
	v_addc_co_u32_e32 v22, vcc, v1, v22, vcc
	global_store_dword v[21:22], v6, off
	v_and_or_b32 v6, v12, s16, v11
	v_cmp_ne_u32_e32 vcc, 0, v6
	v_cndmask_b32_e64 v6, 0, 1, vcc
	v_lshrrev_b32_e32 v11, 8, v12
	v_bfe_u32 v21, v12, 20, 11
	v_and_or_b32 v6, v11, s17, v6
	v_sub_u32_e32 v22, 0x3f1, v21
	v_or_b32_e32 v11, 0x1000, v6
	v_med3_i32 v22, v22, 0, 13
	v_lshrrev_b32_e32 v24, v22, v11
	v_lshlrev_b32_e32 v22, v22, v24
	v_cmp_ne_u32_e32 vcc, v22, v11
	v_mul_f16_sdwa v22, v25, v9 dst_sel:DWORD dst_unused:UNUSED_PAD src0_sel:DWORD src1_sel:WORD_1
	v_cndmask_b32_e64 v11, 0, 1, vcc
	v_fma_f16 v9, v9, v18, -v22
	v_or_b32_e32 v11, v24, v11
	v_add_u32_e32 v24, 0xfffffc10, v21
	v_cvt_f32_f16_e32 v9, v9
	v_lshl_or_b32 v21, v24, 12, v6
	v_cmp_gt_i32_e32 vcc, 1, v24
	v_cndmask_b32_e32 v11, v21, v11, vcc
	v_and_b32_e32 v21, 7, v11
	v_cmp_lt_i32_e32 vcc, 5, v21
	v_cmp_eq_u32_e64 s[0:1], 3, v21
	v_cvt_f64_f32_e32 v[21:22], v9
	v_lshrrev_b32_e32 v11, 2, v11
	s_or_b64 vcc, s[0:1], vcc
	v_addc_co_u32_e32 v9, vcc, 0, v11, vcc
	v_mul_f64 v[21:22], v[21:22], s[14:15]
	v_cmp_gt_i32_e32 vcc, 31, v24
	v_cndmask_b32_e32 v9, v2, v9, vcc
	v_cmp_ne_u32_e32 vcc, 0, v6
	v_cndmask_b32_e64 v6, 0, 1, vcc
	v_lshl_or_b32 v6, v6, 9, v2
	v_cmp_eq_u32_e32 vcc, s10, v24
	v_cndmask_b32_e32 v6, v9, v6, vcc
	v_lshrrev_b32_e32 v9, 16, v12
	v_and_or_b32 v9, v9, s11, v6
	v_and_or_b32 v6, v22, s16, v21
	v_cmp_ne_u32_e32 vcc, 0, v6
	v_cndmask_b32_e64 v6, 0, 1, vcc
	v_lshrrev_b32_e32 v11, 8, v22
	v_bfe_u32 v12, v22, 20, 11
	v_and_or_b32 v6, v11, s17, v6
	v_sub_u32_e32 v18, 0x3f1, v12
	v_or_b32_e32 v11, 0x1000, v6
	v_med3_i32 v18, v18, 0, 13
	v_lshrrev_b32_e32 v21, v18, v11
	v_lshlrev_b32_e32 v18, v18, v21
	v_cmp_ne_u32_e32 vcc, v18, v11
	v_cndmask_b32_e64 v11, 0, 1, vcc
	v_add_u32_e32 v18, 0xfffffc10, v12
	global_load_dword v27, v19, s[6:7] offset:1536
	v_or_b32_e32 v11, v21, v11
	v_lshl_or_b32 v12, v18, 12, v6
	v_cmp_gt_i32_e32 vcc, 1, v18
	v_cndmask_b32_e32 v11, v12, v11, vcc
	v_and_b32_e32 v12, 7, v11
	v_cmp_lt_i32_e32 vcc, 5, v12
	v_cmp_eq_u32_e64 s[0:1], 3, v12
	v_lshrrev_b32_e32 v11, 2, v11
	s_or_b64 vcc, s[0:1], vcc
	v_addc_co_u32_e32 v11, vcc, 0, v11, vcc
	v_or_b32_e32 v23, 0x80, v20
	v_cmp_gt_i32_e32 vcc, 31, v18
	v_cndmask_b32_e32 v21, v2, v11, vcc
	v_mad_u64_u32 v[11:12], s[0:1], s8, v23, 0
	v_cmp_ne_u32_e32 vcc, 0, v6
	v_cndmask_b32_e64 v6, 0, 1, vcc
	v_lshl_or_b32 v6, v6, 9, v2
	v_cmp_eq_u32_e32 vcc, s10, v18
	v_lshrrev_b32_e32 v25, 16, v26
	v_cndmask_b32_e32 v18, v21, v6, vcc
	v_mov_b32_e32 v6, v12
	s_waitcnt vmcnt(7)
	v_mul_f16_sdwa v12, v25, v10 dst_sel:DWORD dst_unused:UNUSED_PAD src0_sel:DWORD src1_sel:WORD_1
	v_fma_f16 v12, v26, v10, v12
	v_cvt_f32_f16_e32 v12, v12
	v_mad_u64_u32 v[23:24], s[0:1], s9, v23, v[6:7]
	v_lshrrev_b32_e32 v6, 16, v22
	v_cvt_f64_f32_e32 v[21:22], v12
	v_mov_b32_e32 v12, v23
	v_lshlrev_b64 v[11:12], 2, v[11:12]
	v_and_or_b32 v6, v6, s11, v18
	v_mul_f64 v[21:22], v[21:22], s[14:15]
	v_and_b32_e32 v9, 0xffff, v9
	v_add_co_u32_e32 v11, vcc, v0, v11
	v_lshl_or_b32 v6, v6, 16, v9
	v_addc_co_u32_e32 v12, vcc, v1, v12, vcc
	global_store_dword v[11:12], v6, off
	v_and_or_b32 v6, v22, s16, v21
	v_cmp_ne_u32_e32 vcc, 0, v6
	v_cndmask_b32_e64 v6, 0, 1, vcc
	v_lshrrev_b32_e32 v9, 8, v22
	v_bfe_u32 v11, v22, 20, 11
	v_and_or_b32 v6, v9, s17, v6
	v_sub_u32_e32 v12, 0x3f1, v11
	v_or_b32_e32 v9, 0x1000, v6
	v_med3_i32 v12, v12, 0, 13
	v_lshrrev_b32_e32 v21, v12, v9
	v_lshlrev_b32_e32 v12, v12, v21
	v_cmp_ne_u32_e32 vcc, v12, v9
	v_cndmask_b32_e64 v9, 0, 1, vcc
	v_or_b32_e32 v9, v21, v9
	v_mul_f16_sdwa v21, v26, v10 dst_sel:DWORD dst_unused:UNUSED_PAD src0_sel:DWORD src1_sel:WORD_1
	v_fma_f16 v10, v10, v25, -v21
	v_add_u32_e32 v11, 0xfffffc10, v11
	v_cvt_f32_f16_e32 v10, v10
	v_lshl_or_b32 v12, v11, 12, v6
	v_cmp_gt_i32_e32 vcc, 1, v11
	v_cndmask_b32_e32 v9, v12, v9, vcc
	v_and_b32_e32 v12, 7, v9
	v_cmp_lt_i32_e32 vcc, 5, v12
	v_cmp_eq_u32_e64 s[0:1], 3, v12
	v_lshrrev_b32_e32 v12, 2, v9
	v_cvt_f64_f32_e32 v[9:10], v10
	s_or_b64 vcc, s[0:1], vcc
	v_addc_co_u32_e32 v12, vcc, 0, v12, vcc
	v_mul_f64 v[9:10], v[9:10], s[14:15]
	v_cmp_gt_i32_e32 vcc, 31, v11
	v_cndmask_b32_e32 v12, v2, v12, vcc
	v_cmp_ne_u32_e32 vcc, 0, v6
	v_cndmask_b32_e64 v6, 0, 1, vcc
	v_lshl_or_b32 v6, v6, 9, v2
	v_cmp_eq_u32_e32 vcc, s10, v11
	v_cndmask_b32_e32 v6, v12, v6, vcc
	v_lshrrev_b32_e32 v11, 16, v22
	v_and_or_b32 v25, v11, s11, v6
	v_and_or_b32 v6, v10, s16, v9
	v_cmp_ne_u32_e32 vcc, 0, v6
	v_cndmask_b32_e64 v6, 0, 1, vcc
	v_lshrrev_b32_e32 v9, 8, v10
	v_bfe_u32 v11, v10, 20, 11
	v_and_or_b32 v6, v9, s17, v6
	v_sub_u32_e32 v12, 0x3f1, v11
	v_or_b32_e32 v9, 0x1000, v6
	v_med3_i32 v12, v12, 0, 13
	v_lshrrev_b32_e32 v21, v12, v9
	v_lshlrev_b32_e32 v12, v12, v21
	v_cmp_ne_u32_e32 vcc, v12, v9
	v_cndmask_b32_e64 v9, 0, 1, vcc
	v_or_b32_e32 v9, v21, v9
	ds_read2st64_b32 v[21:22], v19 offset0:6 offset1:8
	global_load_dword v28, v19, s[6:7] offset:2048
	global_load_dword v29, v19, s[6:7] offset:2560
	;; [unrolled: 1-line block ×4, first 2 shown]
	v_add_u32_e32 v23, 0xfffffc10, v11
	v_lshl_or_b32 v11, v23, 12, v6
	v_cmp_gt_i32_e32 vcc, 1, v23
	v_cndmask_b32_e32 v9, v11, v9, vcc
	v_and_b32_e32 v11, 7, v9
	v_cmp_lt_i32_e32 vcc, 5, v11
	v_cmp_eq_u32_e64 s[0:1], 3, v11
	v_lshrrev_b32_e32 v9, 2, v9
	s_or_b64 vcc, s[0:1], vcc
	v_or_b32_e32 v18, 0x100, v20
	v_addc_co_u32_e32 v9, vcc, 0, v9, vcc
	v_cmp_gt_i32_e32 vcc, 31, v23
	v_mad_u64_u32 v[11:12], s[0:1], s8, v18, 0
	v_cndmask_b32_e32 v9, v2, v9, vcc
	v_cmp_ne_u32_e32 vcc, 0, v6
	v_cndmask_b32_e64 v6, 0, 1, vcc
	v_lshl_or_b32 v6, v6, 9, v2
	v_cmp_eq_u32_e32 vcc, s10, v23
	s_waitcnt lgkmcnt(0)
	v_lshrrev_b32_e32 v26, 16, v21
	v_cndmask_b32_e32 v9, v9, v6, vcc
	v_mov_b32_e32 v6, v12
	s_waitcnt vmcnt(5)
	v_mul_f16_sdwa v12, v26, v27 dst_sel:DWORD dst_unused:UNUSED_PAD src0_sel:DWORD src1_sel:WORD_1
	v_fma_f16 v12, v21, v27, v12
	v_cvt_f32_f16_e32 v12, v12
	v_mad_u64_u32 v[23:24], s[0:1], s9, v18, v[6:7]
	v_lshrrev_b32_e32 v6, 16, v10
	v_and_or_b32 v6, v6, s11, v9
	v_cvt_f64_f32_e32 v[9:10], v12
	v_mov_b32_e32 v12, v23
	v_lshlrev_b64 v[11:12], 2, v[11:12]
	v_and_b32_e32 v18, 0xffff, v25
	v_mul_f64 v[9:10], v[9:10], s[14:15]
	v_add_co_u32_e32 v11, vcc, v0, v11
	v_lshl_or_b32 v6, v6, 16, v18
	v_addc_co_u32_e32 v12, vcc, v1, v12, vcc
	global_store_dword v[11:12], v6, off
	v_or_b32_e32 v18, 0x180, v20
	v_and_or_b32 v6, v10, s16, v9
	v_cmp_ne_u32_e32 vcc, 0, v6
	v_cndmask_b32_e64 v6, 0, 1, vcc
	v_lshrrev_b32_e32 v9, 8, v10
	v_bfe_u32 v11, v10, 20, 11
	v_and_or_b32 v6, v9, s17, v6
	v_sub_u32_e32 v12, 0x3f1, v11
	v_or_b32_e32 v9, 0x1000, v6
	v_med3_i32 v12, v12, 0, 13
	v_lshrrev_b32_e32 v23, v12, v9
	v_lshlrev_b32_e32 v12, v12, v23
	v_cmp_ne_u32_e32 vcc, v12, v9
	v_mul_f16_sdwa v12, v21, v27 dst_sel:DWORD dst_unused:UNUSED_PAD src0_sel:DWORD src1_sel:WORD_1
	v_cndmask_b32_e64 v9, 0, 1, vcc
	v_fma_f16 v12, v27, v26, -v12
	v_or_b32_e32 v9, v23, v9
	v_add_u32_e32 v23, 0xfffffc10, v11
	v_cvt_f32_f16_e32 v12, v12
	v_lshl_or_b32 v11, v23, 12, v6
	v_cmp_gt_i32_e32 vcc, 1, v23
	v_cndmask_b32_e32 v9, v11, v9, vcc
	v_and_b32_e32 v11, 7, v9
	v_cmp_lt_i32_e32 vcc, 5, v11
	v_cmp_eq_u32_e64 s[0:1], 3, v11
	v_cvt_f64_f32_e32 v[11:12], v12
	v_lshrrev_b32_e32 v9, 2, v9
	s_or_b64 vcc, s[0:1], vcc
	v_addc_co_u32_e32 v9, vcc, 0, v9, vcc
	v_mul_f64 v[11:12], v[11:12], s[14:15]
	v_cmp_gt_i32_e32 vcc, 31, v23
	v_cndmask_b32_e32 v9, v2, v9, vcc
	v_cmp_ne_u32_e32 vcc, 0, v6
	v_cndmask_b32_e64 v6, 0, 1, vcc
	v_lshl_or_b32 v6, v6, 9, v2
	v_cmp_eq_u32_e32 vcc, s10, v23
	v_cndmask_b32_e32 v6, v9, v6, vcc
	v_lshrrev_b32_e32 v9, 16, v10
	v_and_or_b32 v21, v9, s11, v6
	v_and_or_b32 v6, v12, s16, v11
	v_cmp_ne_u32_e32 vcc, 0, v6
	v_cndmask_b32_e64 v6, 0, 1, vcc
	v_lshrrev_b32_e32 v9, 8, v12
	v_bfe_u32 v10, v12, 20, 11
	v_and_or_b32 v6, v9, s17, v6
	v_sub_u32_e32 v11, 0x3f1, v10
	v_or_b32_e32 v9, 0x1000, v6
	v_med3_i32 v11, v11, 0, 13
	v_lshrrev_b32_e32 v23, v11, v9
	v_lshlrev_b32_e32 v11, v11, v23
	v_cmp_ne_u32_e32 vcc, v11, v9
	v_cndmask_b32_e64 v9, 0, 1, vcc
	v_add_u32_e32 v11, 0xfffffc10, v10
	v_or_b32_e32 v9, v23, v9
	v_lshl_or_b32 v10, v11, 12, v6
	v_cmp_gt_i32_e32 vcc, 1, v11
	v_cndmask_b32_e32 v9, v10, v9, vcc
	v_and_b32_e32 v10, 7, v9
	v_cmp_lt_i32_e32 vcc, 5, v10
	v_cmp_eq_u32_e64 s[0:1], 3, v10
	v_lshrrev_b32_e32 v9, 2, v9
	s_or_b64 vcc, s[0:1], vcc
	v_addc_co_u32_e32 v9, vcc, 0, v9, vcc
	v_cmp_gt_i32_e32 vcc, 31, v11
	v_cndmask_b32_e32 v23, v2, v9, vcc
	v_mad_u64_u32 v[9:10], s[0:1], s8, v18, 0
	v_cmp_ne_u32_e32 vcc, 0, v6
	v_cndmask_b32_e64 v6, 0, 1, vcc
	v_lshl_or_b32 v6, v6, 9, v2
	v_cmp_eq_u32_e32 vcc, s10, v11
	v_lshrrev_b32_e32 v24, 16, v22
	v_cndmask_b32_e32 v23, v23, v6, vcc
	v_mov_b32_e32 v6, v10
	s_waitcnt vmcnt(4)
	v_mul_f16_sdwa v10, v24, v28 dst_sel:DWORD dst_unused:UNUSED_PAD src0_sel:DWORD src1_sel:WORD_1
	v_fma_f16 v10, v22, v28, v10
	v_cvt_f32_f16_e32 v25, v10
	v_mad_u64_u32 v[10:11], s[0:1], s9, v18, v[6:7]
	v_lshrrev_b32_e32 v6, 16, v12
	v_cvt_f64_f32_e32 v[11:12], v25
	v_lshlrev_b64 v[9:10], 2, v[9:10]
	v_and_or_b32 v6, v6, s11, v23
	v_and_b32_e32 v18, 0xffff, v21
	v_mul_f64 v[11:12], v[11:12], s[14:15]
	v_add_co_u32_e32 v9, vcc, v0, v9
	v_lshl_or_b32 v6, v6, 16, v18
	v_addc_co_u32_e32 v10, vcc, v1, v10, vcc
	global_store_dword v[9:10], v6, off
	v_or_b32_e32 v18, 0x200, v20
	v_and_or_b32 v6, v12, s16, v11
	v_cmp_ne_u32_e32 vcc, 0, v6
	v_cndmask_b32_e64 v6, 0, 1, vcc
	v_lshrrev_b32_e32 v9, 8, v12
	v_bfe_u32 v10, v12, 20, 11
	v_and_or_b32 v6, v9, s17, v6
	v_sub_u32_e32 v11, 0x3f1, v10
	v_or_b32_e32 v9, 0x1000, v6
	v_med3_i32 v11, v11, 0, 13
	v_lshrrev_b32_e32 v21, v11, v9
	v_lshlrev_b32_e32 v11, v11, v21
	v_cmp_ne_u32_e32 vcc, v11, v9
	v_cndmask_b32_e64 v9, 0, 1, vcc
	v_or_b32_e32 v9, v21, v9
	v_mul_f16_sdwa v21, v22, v28 dst_sel:DWORD dst_unused:UNUSED_PAD src0_sel:DWORD src1_sel:WORD_1
	v_fma_f16 v21, v28, v24, -v21
	v_add_u32_e32 v11, 0xfffffc10, v10
	v_cvt_f32_f16_e32 v21, v21
	v_lshl_or_b32 v10, v11, 12, v6
	v_cmp_gt_i32_e32 vcc, 1, v11
	v_cndmask_b32_e32 v9, v10, v9, vcc
	v_and_b32_e32 v10, 7, v9
	v_cmp_lt_i32_e32 vcc, 5, v10
	v_cmp_eq_u32_e64 s[0:1], 3, v10
	v_lshrrev_b32_e32 v22, 2, v9
	v_cvt_f64_f32_e32 v[9:10], v21
	s_or_b64 vcc, s[0:1], vcc
	v_addc_co_u32_e32 v21, vcc, 0, v22, vcc
	v_mul_f64 v[9:10], v[9:10], s[14:15]
	v_cmp_gt_i32_e32 vcc, 31, v11
	v_cndmask_b32_e32 v21, v2, v21, vcc
	v_cmp_ne_u32_e32 vcc, 0, v6
	v_cndmask_b32_e64 v6, 0, 1, vcc
	v_lshl_or_b32 v6, v6, 9, v2
	v_cmp_eq_u32_e32 vcc, s10, v11
	v_cndmask_b32_e32 v6, v21, v6, vcc
	v_lshrrev_b32_e32 v11, 16, v12
	v_and_or_b32 v25, v11, s11, v6
	v_and_or_b32 v6, v10, s16, v9
	v_cmp_ne_u32_e32 vcc, 0, v6
	v_cndmask_b32_e64 v6, 0, 1, vcc
	v_lshrrev_b32_e32 v9, 8, v10
	v_bfe_u32 v11, v10, 20, 11
	v_and_or_b32 v6, v9, s17, v6
	v_sub_u32_e32 v12, 0x3f1, v11
	v_or_b32_e32 v9, 0x1000, v6
	v_med3_i32 v12, v12, 0, 13
	v_lshrrev_b32_e32 v21, v12, v9
	v_lshlrev_b32_e32 v12, v12, v21
	v_cmp_ne_u32_e32 vcc, v12, v9
	v_cndmask_b32_e64 v9, 0, 1, vcc
	v_add_u32_e32 v23, 0xfffffc10, v11
	v_or_b32_e32 v9, v21, v9
	v_lshl_or_b32 v11, v23, 12, v6
	v_cmp_gt_i32_e32 vcc, 1, v23
	v_cndmask_b32_e32 v9, v11, v9, vcc
	v_and_b32_e32 v11, 7, v9
	v_cmp_lt_i32_e32 vcc, 5, v11
	v_cmp_eq_u32_e64 s[0:1], 3, v11
	v_lshrrev_b32_e32 v9, 2, v9
	s_or_b64 vcc, s[0:1], vcc
	ds_read2st64_b32 v[21:22], v19 offset0:10 offset1:12
	v_addc_co_u32_e32 v9, vcc, 0, v9, vcc
	v_cmp_gt_i32_e32 vcc, 31, v23
	v_mad_u64_u32 v[11:12], s[0:1], s8, v18, 0
	v_cndmask_b32_e32 v9, v2, v9, vcc
	v_cmp_ne_u32_e32 vcc, 0, v6
	v_cndmask_b32_e64 v6, 0, 1, vcc
	v_lshl_or_b32 v6, v6, 9, v2
	v_cmp_eq_u32_e32 vcc, s10, v23
	s_waitcnt lgkmcnt(0)
	v_lshrrev_b32_e32 v26, 16, v21
	v_cndmask_b32_e32 v9, v9, v6, vcc
	v_mov_b32_e32 v6, v12
	s_waitcnt vmcnt(4)
	v_mul_f16_sdwa v12, v26, v29 dst_sel:DWORD dst_unused:UNUSED_PAD src0_sel:DWORD src1_sel:WORD_1
	v_fma_f16 v12, v21, v29, v12
	v_cvt_f32_f16_e32 v12, v12
	v_mad_u64_u32 v[23:24], s[0:1], s9, v18, v[6:7]
	v_lshrrev_b32_e32 v6, 16, v10
	v_and_or_b32 v6, v6, s11, v9
	v_cvt_f64_f32_e32 v[9:10], v12
	v_mov_b32_e32 v12, v23
	v_lshlrev_b64 v[11:12], 2, v[11:12]
	v_and_b32_e32 v18, 0xffff, v25
	v_mul_f64 v[9:10], v[9:10], s[14:15]
	v_add_co_u32_e32 v11, vcc, v0, v11
	v_lshl_or_b32 v6, v6, 16, v18
	v_addc_co_u32_e32 v12, vcc, v1, v12, vcc
	global_store_dword v[11:12], v6, off
	v_or_b32_e32 v18, 0x280, v20
	v_and_or_b32 v6, v10, s16, v9
	v_cmp_ne_u32_e32 vcc, 0, v6
	v_cndmask_b32_e64 v6, 0, 1, vcc
	v_lshrrev_b32_e32 v9, 8, v10
	v_bfe_u32 v11, v10, 20, 11
	v_and_or_b32 v6, v9, s17, v6
	v_sub_u32_e32 v12, 0x3f1, v11
	v_or_b32_e32 v9, 0x1000, v6
	v_med3_i32 v12, v12, 0, 13
	v_lshrrev_b32_e32 v23, v12, v9
	v_lshlrev_b32_e32 v12, v12, v23
	v_cmp_ne_u32_e32 vcc, v12, v9
	v_mul_f16_sdwa v12, v21, v29 dst_sel:DWORD dst_unused:UNUSED_PAD src0_sel:DWORD src1_sel:WORD_1
	v_cndmask_b32_e64 v9, 0, 1, vcc
	v_fma_f16 v12, v29, v26, -v12
	v_or_b32_e32 v9, v23, v9
	v_add_u32_e32 v23, 0xfffffc10, v11
	v_cvt_f32_f16_e32 v12, v12
	v_lshl_or_b32 v11, v23, 12, v6
	v_cmp_gt_i32_e32 vcc, 1, v23
	v_cndmask_b32_e32 v9, v11, v9, vcc
	v_and_b32_e32 v11, 7, v9
	v_cmp_lt_i32_e32 vcc, 5, v11
	v_cmp_eq_u32_e64 s[0:1], 3, v11
	v_cvt_f64_f32_e32 v[11:12], v12
	v_lshrrev_b32_e32 v9, 2, v9
	s_or_b64 vcc, s[0:1], vcc
	v_addc_co_u32_e32 v9, vcc, 0, v9, vcc
	v_mul_f64 v[11:12], v[11:12], s[14:15]
	v_cmp_gt_i32_e32 vcc, 31, v23
	v_cndmask_b32_e32 v9, v2, v9, vcc
	v_cmp_ne_u32_e32 vcc, 0, v6
	v_cndmask_b32_e64 v6, 0, 1, vcc
	v_lshl_or_b32 v6, v6, 9, v2
	v_cmp_eq_u32_e32 vcc, s10, v23
	v_cndmask_b32_e32 v6, v9, v6, vcc
	v_lshrrev_b32_e32 v9, 16, v10
	v_and_or_b32 v21, v9, s11, v6
	v_and_or_b32 v6, v12, s16, v11
	v_cmp_ne_u32_e32 vcc, 0, v6
	v_cndmask_b32_e64 v6, 0, 1, vcc
	v_lshrrev_b32_e32 v9, 8, v12
	v_bfe_u32 v10, v12, 20, 11
	v_and_or_b32 v6, v9, s17, v6
	v_sub_u32_e32 v11, 0x3f1, v10
	v_or_b32_e32 v9, 0x1000, v6
	v_med3_i32 v11, v11, 0, 13
	v_lshrrev_b32_e32 v23, v11, v9
	v_lshlrev_b32_e32 v11, v11, v23
	v_cmp_ne_u32_e32 vcc, v11, v9
	v_cndmask_b32_e64 v9, 0, 1, vcc
	v_add_u32_e32 v11, 0xfffffc10, v10
	v_or_b32_e32 v9, v23, v9
	v_lshl_or_b32 v10, v11, 12, v6
	v_cmp_gt_i32_e32 vcc, 1, v11
	v_cndmask_b32_e32 v9, v10, v9, vcc
	v_and_b32_e32 v10, 7, v9
	v_cmp_lt_i32_e32 vcc, 5, v10
	v_cmp_eq_u32_e64 s[0:1], 3, v10
	v_lshrrev_b32_e32 v9, 2, v9
	s_or_b64 vcc, s[0:1], vcc
	v_addc_co_u32_e32 v9, vcc, 0, v9, vcc
	v_cmp_gt_i32_e32 vcc, 31, v11
	v_cndmask_b32_e32 v23, v2, v9, vcc
	v_mad_u64_u32 v[9:10], s[0:1], s8, v18, 0
	v_cmp_ne_u32_e32 vcc, 0, v6
	v_cndmask_b32_e64 v6, 0, 1, vcc
	v_lshl_or_b32 v6, v6, 9, v2
	v_cmp_eq_u32_e32 vcc, s10, v11
	v_lshrrev_b32_e32 v24, 16, v22
	v_cndmask_b32_e32 v23, v23, v6, vcc
	v_mov_b32_e32 v6, v10
	s_waitcnt vmcnt(4)
	v_mul_f16_sdwa v10, v24, v30 dst_sel:DWORD dst_unused:UNUSED_PAD src0_sel:DWORD src1_sel:WORD_1
	v_fma_f16 v10, v22, v30, v10
	v_cvt_f32_f16_e32 v25, v10
	v_mad_u64_u32 v[10:11], s[0:1], s9, v18, v[6:7]
	v_lshrrev_b32_e32 v6, 16, v12
	v_cvt_f64_f32_e32 v[11:12], v25
	v_lshlrev_b64 v[9:10], 2, v[9:10]
	v_and_or_b32 v6, v6, s11, v23
	v_and_b32_e32 v18, 0xffff, v21
	v_mul_f64 v[11:12], v[11:12], s[14:15]
	v_add_co_u32_e32 v9, vcc, v0, v9
	v_lshl_or_b32 v6, v6, 16, v18
	v_addc_co_u32_e32 v10, vcc, v1, v10, vcc
	global_store_dword v[9:10], v6, off
	v_or_b32_e32 v18, 0x300, v20
	v_and_or_b32 v6, v12, s16, v11
	v_cmp_ne_u32_e32 vcc, 0, v6
	v_cndmask_b32_e64 v6, 0, 1, vcc
	v_lshrrev_b32_e32 v9, 8, v12
	v_bfe_u32 v10, v12, 20, 11
	v_and_or_b32 v6, v9, s17, v6
	v_sub_u32_e32 v11, 0x3f1, v10
	v_or_b32_e32 v9, 0x1000, v6
	v_med3_i32 v11, v11, 0, 13
	v_lshrrev_b32_e32 v21, v11, v9
	v_lshlrev_b32_e32 v11, v11, v21
	v_cmp_ne_u32_e32 vcc, v11, v9
	v_cndmask_b32_e64 v9, 0, 1, vcc
	v_or_b32_e32 v9, v21, v9
	v_mul_f16_sdwa v21, v22, v30 dst_sel:DWORD dst_unused:UNUSED_PAD src0_sel:DWORD src1_sel:WORD_1
	v_fma_f16 v21, v30, v24, -v21
	v_add_u32_e32 v11, 0xfffffc10, v10
	v_cvt_f32_f16_e32 v21, v21
	v_lshl_or_b32 v10, v11, 12, v6
	v_cmp_gt_i32_e32 vcc, 1, v11
	v_cndmask_b32_e32 v9, v10, v9, vcc
	v_and_b32_e32 v10, 7, v9
	v_cmp_lt_i32_e32 vcc, 5, v10
	v_cmp_eq_u32_e64 s[0:1], 3, v10
	v_lshrrev_b32_e32 v22, 2, v9
	v_cvt_f64_f32_e32 v[9:10], v21
	s_or_b64 vcc, s[0:1], vcc
	v_addc_co_u32_e32 v21, vcc, 0, v22, vcc
	v_mul_f64 v[9:10], v[9:10], s[14:15]
	v_cmp_gt_i32_e32 vcc, 31, v11
	v_cndmask_b32_e32 v21, v2, v21, vcc
	v_cmp_ne_u32_e32 vcc, 0, v6
	v_cndmask_b32_e64 v6, 0, 1, vcc
	v_lshl_or_b32 v6, v6, 9, v2
	v_cmp_eq_u32_e32 vcc, s10, v11
	v_cndmask_b32_e32 v6, v21, v6, vcc
	v_lshrrev_b32_e32 v11, 16, v12
	v_and_or_b32 v25, v11, s11, v6
	v_and_or_b32 v6, v10, s16, v9
	v_cmp_ne_u32_e32 vcc, 0, v6
	v_cndmask_b32_e64 v6, 0, 1, vcc
	v_lshrrev_b32_e32 v9, 8, v10
	v_bfe_u32 v11, v10, 20, 11
	v_and_or_b32 v6, v9, s17, v6
	v_sub_u32_e32 v12, 0x3f1, v11
	v_or_b32_e32 v9, 0x1000, v6
	v_med3_i32 v12, v12, 0, 13
	v_lshrrev_b32_e32 v21, v12, v9
	v_lshlrev_b32_e32 v12, v12, v21
	v_cmp_ne_u32_e32 vcc, v12, v9
	v_cndmask_b32_e64 v9, 0, 1, vcc
	v_add_u32_e32 v23, 0xfffffc10, v11
	v_or_b32_e32 v9, v21, v9
	v_lshl_or_b32 v11, v23, 12, v6
	v_cmp_gt_i32_e32 vcc, 1, v23
	v_cndmask_b32_e32 v9, v11, v9, vcc
	v_and_b32_e32 v11, 7, v9
	v_cmp_lt_i32_e32 vcc, 5, v11
	v_cmp_eq_u32_e64 s[0:1], 3, v11
	v_lshrrev_b32_e32 v9, 2, v9
	s_or_b64 vcc, s[0:1], vcc
	ds_read2st64_b32 v[21:22], v19 offset0:14 offset1:16
	v_addc_co_u32_e32 v9, vcc, 0, v9, vcc
	v_cmp_gt_i32_e32 vcc, 31, v23
	v_mad_u64_u32 v[11:12], s[0:1], s8, v18, 0
	v_cndmask_b32_e32 v9, v2, v9, vcc
	v_cmp_ne_u32_e32 vcc, 0, v6
	v_cndmask_b32_e64 v6, 0, 1, vcc
	v_lshl_or_b32 v6, v6, 9, v2
	v_cmp_eq_u32_e32 vcc, s10, v23
	s_waitcnt lgkmcnt(0)
	v_lshrrev_b32_e32 v26, 16, v21
	v_cndmask_b32_e32 v9, v9, v6, vcc
	v_mov_b32_e32 v6, v12
	s_waitcnt vmcnt(4)
	v_mul_f16_sdwa v12, v26, v31 dst_sel:DWORD dst_unused:UNUSED_PAD src0_sel:DWORD src1_sel:WORD_1
	v_fma_f16 v12, v21, v31, v12
	v_cvt_f32_f16_e32 v12, v12
	v_mad_u64_u32 v[23:24], s[0:1], s9, v18, v[6:7]
	v_lshrrev_b32_e32 v6, 16, v10
	v_and_or_b32 v6, v6, s11, v9
	v_cvt_f64_f32_e32 v[9:10], v12
	v_mov_b32_e32 v12, v23
	v_lshlrev_b64 v[11:12], 2, v[11:12]
	v_and_b32_e32 v18, 0xffff, v25
	v_mul_f64 v[9:10], v[9:10], s[14:15]
	v_add_co_u32_e32 v11, vcc, v0, v11
	v_lshl_or_b32 v6, v6, 16, v18
	v_addc_co_u32_e32 v12, vcc, v1, v12, vcc
	global_store_dword v[11:12], v6, off
	v_or_b32_e32 v18, 0x380, v20
	v_and_or_b32 v6, v10, s16, v9
	v_cmp_ne_u32_e32 vcc, 0, v6
	v_cndmask_b32_e64 v6, 0, 1, vcc
	v_lshrrev_b32_e32 v9, 8, v10
	v_bfe_u32 v11, v10, 20, 11
	v_and_or_b32 v6, v9, s17, v6
	v_sub_u32_e32 v12, 0x3f1, v11
	v_or_b32_e32 v9, 0x1000, v6
	v_med3_i32 v12, v12, 0, 13
	v_lshrrev_b32_e32 v20, v12, v9
	v_lshlrev_b32_e32 v12, v12, v20
	v_cmp_ne_u32_e32 vcc, v12, v9
	v_mul_f16_sdwa v12, v21, v31 dst_sel:DWORD dst_unused:UNUSED_PAD src0_sel:DWORD src1_sel:WORD_1
	v_cndmask_b32_e64 v9, 0, 1, vcc
	v_fma_f16 v12, v31, v26, -v12
	v_or_b32_e32 v9, v20, v9
	v_add_u32_e32 v20, 0xfffffc10, v11
	v_cvt_f32_f16_e32 v12, v12
	v_lshl_or_b32 v11, v20, 12, v6
	v_cmp_gt_i32_e32 vcc, 1, v20
	v_cndmask_b32_e32 v9, v11, v9, vcc
	v_and_b32_e32 v11, 7, v9
	v_cmp_lt_i32_e32 vcc, 5, v11
	v_cmp_eq_u32_e64 s[0:1], 3, v11
	v_cvt_f64_f32_e32 v[11:12], v12
	v_lshrrev_b32_e32 v9, 2, v9
	s_or_b64 vcc, s[0:1], vcc
	v_addc_co_u32_e32 v9, vcc, 0, v9, vcc
	v_mul_f64 v[11:12], v[11:12], s[14:15]
	v_cmp_gt_i32_e32 vcc, 31, v20
	v_cndmask_b32_e32 v9, v2, v9, vcc
	v_cmp_ne_u32_e32 vcc, 0, v6
	v_cndmask_b32_e64 v6, 0, 1, vcc
	v_lshl_or_b32 v6, v6, 9, v2
	v_cmp_eq_u32_e32 vcc, s10, v20
	v_cndmask_b32_e32 v6, v9, v6, vcc
	v_lshrrev_b32_e32 v9, 16, v10
	v_and_or_b32 v20, v9, s11, v6
	v_and_or_b32 v6, v12, s16, v11
	v_cmp_ne_u32_e32 vcc, 0, v6
	v_cndmask_b32_e64 v6, 0, 1, vcc
	v_lshrrev_b32_e32 v9, 8, v12
	v_bfe_u32 v10, v12, 20, 11
	v_and_or_b32 v6, v9, s17, v6
	v_sub_u32_e32 v11, 0x3f1, v10
	v_or_b32_e32 v9, 0x1000, v6
	v_med3_i32 v11, v11, 0, 13
	v_lshrrev_b32_e32 v21, v11, v9
	v_lshlrev_b32_e32 v11, v11, v21
	v_cmp_ne_u32_e32 vcc, v11, v9
	v_cndmask_b32_e64 v9, 0, 1, vcc
	v_add_u32_e32 v11, 0xfffffc10, v10
	v_or_b32_e32 v9, v21, v9
	v_lshl_or_b32 v10, v11, 12, v6
	v_cmp_gt_i32_e32 vcc, 1, v11
	v_cndmask_b32_e32 v9, v10, v9, vcc
	v_and_b32_e32 v10, 7, v9
	v_cmp_lt_i32_e32 vcc, 5, v10
	v_cmp_eq_u32_e64 s[0:1], 3, v10
	v_lshrrev_b32_e32 v9, 2, v9
	s_or_b64 vcc, s[0:1], vcc
	v_addc_co_u32_e32 v9, vcc, 0, v9, vcc
	v_cmp_gt_i32_e32 vcc, 31, v11
	v_cndmask_b32_e32 v21, v2, v9, vcc
	v_mad_u64_u32 v[9:10], s[0:1], s8, v18, 0
	v_cmp_ne_u32_e32 vcc, 0, v6
	v_cndmask_b32_e64 v6, 0, 1, vcc
	v_lshl_or_b32 v6, v6, 9, v2
	v_cmp_eq_u32_e32 vcc, s10, v11
	v_lshrrev_b32_e32 v23, 16, v22
	v_cndmask_b32_e32 v21, v21, v6, vcc
	v_mov_b32_e32 v6, v10
	v_mul_f16_sdwa v10, v23, v17 dst_sel:DWORD dst_unused:UNUSED_PAD src0_sel:DWORD src1_sel:WORD_1
	v_fma_f16 v10, v22, v17, v10
	v_cvt_f32_f16_e32 v24, v10
	v_mad_u64_u32 v[10:11], s[0:1], s9, v18, v[6:7]
	v_lshrrev_b32_e32 v6, 16, v12
	v_cvt_f64_f32_e32 v[11:12], v24
	v_lshlrev_b64 v[9:10], 2, v[9:10]
	v_and_or_b32 v6, v6, s11, v21
	v_and_b32_e32 v18, 0xffff, v20
	v_mul_f64 v[11:12], v[11:12], s[14:15]
	v_add_co_u32_e32 v9, vcc, v0, v9
	v_lshl_or_b32 v6, v6, 16, v18
	v_addc_co_u32_e32 v10, vcc, v1, v10, vcc
	global_store_dword v[9:10], v6, off
	v_and_or_b32 v6, v12, s16, v11
	v_cmp_ne_u32_e32 vcc, 0, v6
	v_cndmask_b32_e64 v6, 0, 1, vcc
	v_lshrrev_b32_e32 v9, 8, v12
	v_bfe_u32 v10, v12, 20, 11
	v_and_or_b32 v6, v9, s17, v6
	v_sub_u32_e32 v11, 0x3f1, v10
	v_or_b32_e32 v9, 0x1000, v6
	v_med3_i32 v11, v11, 0, 13
	v_lshrrev_b32_e32 v18, v11, v9
	v_lshlrev_b32_e32 v11, v11, v18
	v_cmp_ne_u32_e32 vcc, v11, v9
	v_cndmask_b32_e64 v9, 0, 1, vcc
	v_or_b32_e32 v9, v18, v9
	v_mul_f16_sdwa v18, v22, v17 dst_sel:DWORD dst_unused:UNUSED_PAD src0_sel:DWORD src1_sel:WORD_1
	v_fma_f16 v17, v17, v23, -v18
	v_add_u32_e32 v11, 0xfffffc10, v10
	v_cvt_f32_f16_e32 v17, v17
	v_lshl_or_b32 v10, v11, 12, v6
	v_cmp_gt_i32_e32 vcc, 1, v11
	v_cndmask_b32_e32 v9, v10, v9, vcc
	v_and_b32_e32 v10, 7, v9
	v_cmp_lt_i32_e32 vcc, 5, v10
	v_cmp_eq_u32_e64 s[0:1], 3, v10
	v_lshrrev_b32_e32 v18, 2, v9
	v_cvt_f64_f32_e32 v[9:10], v17
	s_or_b64 vcc, s[0:1], vcc
	v_addc_co_u32_e32 v17, vcc, 0, v18, vcc
	v_mul_f64 v[9:10], v[9:10], s[14:15]
	v_cmp_gt_i32_e32 vcc, 31, v11
	v_cndmask_b32_e32 v17, v2, v17, vcc
	v_cmp_ne_u32_e32 vcc, 0, v6
	v_cndmask_b32_e64 v6, 0, 1, vcc
	v_lshl_or_b32 v6, v6, 9, v2
	v_cmp_eq_u32_e32 vcc, s10, v11
	v_cndmask_b32_e32 v6, v17, v6, vcc
	v_lshrrev_b32_e32 v11, 16, v12
	v_and_or_b32 v22, v11, s11, v6
	v_and_or_b32 v6, v10, s16, v9
	v_cmp_ne_u32_e32 vcc, 0, v6
	v_cndmask_b32_e64 v6, 0, 1, vcc
	v_lshrrev_b32_e32 v9, 8, v10
	v_bfe_u32 v11, v10, 20, 11
	v_and_or_b32 v6, v9, s17, v6
	v_sub_u32_e32 v12, 0x3f1, v11
	v_or_b32_e32 v9, 0x1000, v6
	v_med3_i32 v12, v12, 0, 13
	v_lshrrev_b32_e32 v17, v12, v9
	v_lshlrev_b32_e32 v12, v12, v17
	v_cmp_ne_u32_e32 vcc, v12, v9
	v_cndmask_b32_e64 v9, 0, 1, vcc
	v_add_u32_e32 v20, 0xfffffc10, v11
	v_or_b32_e32 v9, v17, v9
	v_lshl_or_b32 v11, v20, 12, v6
	v_cmp_gt_i32_e32 vcc, 1, v20
	v_cndmask_b32_e32 v9, v11, v9, vcc
	v_and_b32_e32 v11, 7, v9
	v_cmp_lt_i32_e32 vcc, 5, v11
	v_cmp_eq_u32_e64 s[0:1], 3, v11
	v_lshrrev_b32_e32 v9, 2, v9
	s_or_b64 vcc, s[0:1], vcc
	ds_read2st64_b32 v[17:18], v19 offset0:18 offset1:20
	v_addc_co_u32_e32 v9, vcc, 0, v9, vcc
	v_cmp_gt_i32_e32 vcc, 31, v20
	v_cndmask_b32_e32 v9, v2, v9, vcc
	v_cmp_ne_u32_e32 vcc, 0, v6
	v_cndmask_b32_e64 v6, 0, 1, vcc
	v_lshl_or_b32 v6, v6, 9, v2
	v_cmp_eq_u32_e32 vcc, s10, v20
	s_waitcnt lgkmcnt(0)
	v_lshrrev_b32_e32 v24, 16, v17
	v_cndmask_b32_e32 v23, v9, v6, vcc
	v_mul_f16_sdwa v9, v24, v16 dst_sel:DWORD dst_unused:UNUSED_PAD src0_sel:DWORD src1_sel:WORD_1
	v_mad_u64_u32 v[11:12], s[0:1], s8, v3, 0
	v_fma_f16 v9, v17, v16, v9
	v_cvt_f32_f16_e32 v9, v9
	v_mov_b32_e32 v6, v12
	v_mad_u64_u32 v[20:21], s[0:1], s9, v3, v[6:7]
	v_lshrrev_b32_e32 v3, 16, v10
	v_cvt_f64_f32_e32 v[9:10], v9
	v_mov_b32_e32 v12, v20
	v_lshlrev_b64 v[11:12], 2, v[11:12]
	v_and_or_b32 v3, v3, s11, v23
	v_mul_f64 v[9:10], v[9:10], s[14:15]
	v_and_b32_e32 v6, 0xffff, v22
	v_add_co_u32_e32 v11, vcc, v0, v11
	v_lshl_or_b32 v3, v3, 16, v6
	v_addc_co_u32_e32 v12, vcc, v1, v12, vcc
	global_store_dword v[11:12], v3, off
	v_and_or_b32 v3, v10, s16, v9
	v_cmp_ne_u32_e32 vcc, 0, v3
	v_cndmask_b32_e64 v3, 0, 1, vcc
	v_lshrrev_b32_e32 v6, 8, v10
	v_bfe_u32 v9, v10, 20, 11
	v_and_or_b32 v3, v6, s17, v3
	v_sub_u32_e32 v11, 0x3f1, v9
	v_or_b32_e32 v6, 0x1000, v3
	v_med3_i32 v11, v11, 0, 13
	v_lshrrev_b32_e32 v12, v11, v6
	v_lshlrev_b32_e32 v11, v11, v12
	v_cmp_ne_u32_e32 vcc, v11, v6
	v_cndmask_b32_e64 v6, 0, 1, vcc
	v_or_b32_e32 v6, v12, v6
	v_mul_f16_sdwa v12, v17, v16 dst_sel:DWORD dst_unused:UNUSED_PAD src0_sel:DWORD src1_sel:WORD_1
	v_fma_f16 v12, v16, v24, -v12
	v_add_u32_e32 v9, 0xfffffc10, v9
	v_cvt_f32_f16_e32 v12, v12
	v_lshl_or_b32 v11, v9, 12, v3
	v_cmp_gt_i32_e32 vcc, 1, v9
	v_cndmask_b32_e32 v6, v11, v6, vcc
	v_and_b32_e32 v11, 7, v6
	v_cmp_lt_i32_e32 vcc, 5, v11
	v_cmp_eq_u32_e64 s[0:1], 3, v11
	v_cvt_f64_f32_e32 v[11:12], v12
	v_lshrrev_b32_e32 v6, 2, v6
	s_or_b64 vcc, s[0:1], vcc
	v_addc_co_u32_e32 v6, vcc, 0, v6, vcc
	v_mul_f64 v[11:12], v[11:12], s[14:15]
	v_cmp_gt_i32_e32 vcc, 31, v9
	v_cndmask_b32_e32 v6, v2, v6, vcc
	v_cmp_ne_u32_e32 vcc, 0, v3
	v_cndmask_b32_e64 v3, 0, 1, vcc
	v_lshl_or_b32 v3, v3, 9, v2
	v_cmp_eq_u32_e32 vcc, s10, v9
	v_cndmask_b32_e32 v3, v6, v3, vcc
	v_lshrrev_b32_e32 v6, 16, v10
	v_and_or_b32 v6, v6, s11, v3
	v_and_or_b32 v3, v12, s16, v11
	v_cmp_ne_u32_e32 vcc, 0, v3
	v_cndmask_b32_e64 v3, 0, 1, vcc
	v_lshrrev_b32_e32 v9, 8, v12
	v_bfe_u32 v10, v12, 20, 11
	v_and_or_b32 v3, v9, s17, v3
	v_sub_u32_e32 v11, 0x3f1, v10
	v_or_b32_e32 v9, 0x1000, v3
	v_med3_i32 v11, v11, 0, 13
	v_lshrrev_b32_e32 v16, v11, v9
	v_lshlrev_b32_e32 v11, v11, v16
	v_cmp_ne_u32_e32 vcc, v11, v9
	v_cndmask_b32_e64 v9, 0, 1, vcc
	v_add_u32_e32 v11, 0xfffffc10, v10
	v_or_b32_e32 v9, v16, v9
	v_lshl_or_b32 v10, v11, 12, v3
	v_cmp_gt_i32_e32 vcc, 1, v11
	v_cndmask_b32_e32 v9, v10, v9, vcc
	v_and_b32_e32 v10, 7, v9
	v_cmp_lt_i32_e32 vcc, 5, v10
	v_cmp_eq_u32_e64 s[0:1], 3, v10
	v_lshrrev_b32_e32 v9, 2, v9
	s_or_b64 vcc, s[0:1], vcc
	v_addc_co_u32_e32 v9, vcc, 0, v9, vcc
	v_cmp_gt_i32_e32 vcc, 31, v11
	v_cndmask_b32_e32 v16, v2, v9, vcc
	v_mad_u64_u32 v[9:10], s[0:1], s8, v4, 0
	v_cmp_ne_u32_e32 vcc, 0, v3
	v_cndmask_b32_e64 v3, 0, 1, vcc
	v_lshl_or_b32 v3, v3, 9, v2
	v_cmp_eq_u32_e32 vcc, s10, v11
	v_lshrrev_b32_e32 v17, 16, v18
	v_cndmask_b32_e32 v16, v16, v3, vcc
	v_mov_b32_e32 v3, v10
	v_mul_f16_sdwa v10, v17, v15 dst_sel:DWORD dst_unused:UNUSED_PAD src0_sel:DWORD src1_sel:WORD_1
	v_fma_f16 v10, v18, v15, v10
	v_cvt_f32_f16_e32 v10, v10
	v_mad_u64_u32 v[3:4], s[0:1], s9, v4, v[3:4]
	v_lshrrev_b32_e32 v4, 16, v12
	v_cvt_f64_f32_e32 v[11:12], v10
	v_and_or_b32 v16, v4, s11, v16
	v_mov_b32_e32 v10, v3
	v_lshlrev_b64 v[9:10], 2, v[9:10]
	v_mul_f64 v[3:4], v[11:12], s[14:15]
	v_add_co_u32_e32 v9, vcc, v0, v9
	v_and_b32_e32 v6, 0xffff, v6
	v_addc_co_u32_e32 v10, vcc, v1, v10, vcc
	v_lshl_or_b32 v6, v16, 16, v6
	global_store_dword v[9:10], v6, off
	v_and_or_b32 v3, v4, s16, v3
	v_cmp_ne_u32_e32 vcc, 0, v3
	v_cndmask_b32_e64 v3, 0, 1, vcc
	v_lshrrev_b32_e32 v6, 8, v4
	v_bfe_u32 v9, v4, 20, 11
	v_and_or_b32 v3, v6, s17, v3
	v_sub_u32_e32 v10, 0x3f1, v9
	v_or_b32_e32 v6, 0x1000, v3
	v_med3_i32 v10, v10, 0, 13
	v_lshrrev_b32_e32 v11, v10, v6
	v_lshlrev_b32_e32 v10, v10, v11
	v_cmp_ne_u32_e32 vcc, v10, v6
	v_mul_f16_sdwa v10, v18, v15 dst_sel:DWORD dst_unused:UNUSED_PAD src0_sel:DWORD src1_sel:WORD_1
	v_cndmask_b32_e64 v6, 0, 1, vcc
	v_fma_f16 v10, v15, v17, -v10
	v_or_b32_e32 v6, v11, v6
	v_add_u32_e32 v11, 0xfffffc10, v9
	v_cvt_f32_f16_e32 v10, v10
	v_lshl_or_b32 v9, v11, 12, v3
	v_cmp_gt_i32_e32 vcc, 1, v11
	v_cndmask_b32_e32 v6, v9, v6, vcc
	v_and_b32_e32 v9, 7, v6
	v_cmp_lt_i32_e32 vcc, 5, v9
	v_cmp_eq_u32_e64 s[0:1], 3, v9
	v_cvt_f64_f32_e32 v[9:10], v10
	v_lshrrev_b32_e32 v6, 2, v6
	s_or_b64 vcc, s[0:1], vcc
	v_addc_co_u32_e32 v6, vcc, 0, v6, vcc
	v_mul_f64 v[9:10], v[9:10], s[14:15]
	v_cmp_gt_i32_e32 vcc, 31, v11
	v_cndmask_b32_e32 v6, v2, v6, vcc
	v_cmp_ne_u32_e32 vcc, 0, v3
	v_cndmask_b32_e64 v3, 0, 1, vcc
	v_lshl_or_b32 v3, v3, 9, v2
	v_cmp_eq_u32_e32 vcc, s10, v11
	v_cndmask_b32_e32 v3, v6, v3, vcc
	v_lshrrev_b32_e32 v4, 16, v4
	v_and_or_b32 v15, v4, s11, v3
	v_and_or_b32 v3, v10, s16, v9
	v_cmp_ne_u32_e32 vcc, 0, v3
	v_cndmask_b32_e64 v3, 0, 1, vcc
	v_lshrrev_b32_e32 v4, 8, v10
	v_bfe_u32 v6, v10, 20, 11
	v_and_or_b32 v3, v4, s17, v3
	v_sub_u32_e32 v9, 0x3f1, v6
	v_or_b32_e32 v4, 0x1000, v3
	v_med3_i32 v9, v9, 0, 13
	v_lshrrev_b32_e32 v11, v9, v4
	v_lshlrev_b32_e32 v9, v9, v11
	v_cmp_ne_u32_e32 vcc, v9, v4
	v_cndmask_b32_e64 v4, 0, 1, vcc
	v_add_u32_e32 v6, 0xfffffc10, v6
	v_or_b32_e32 v4, v11, v4
	v_lshl_or_b32 v9, v6, 12, v3
	v_cmp_gt_i32_e32 vcc, 1, v6
	v_cndmask_b32_e32 v4, v9, v4, vcc
	v_and_b32_e32 v9, 7, v4
	ds_read2st64_b32 v[11:12], v19 offset0:22 offset1:24
	v_cmp_lt_i32_e32 vcc, 5, v9
	v_cmp_eq_u32_e64 s[0:1], 3, v9
	v_lshrrev_b32_e32 v4, 2, v4
	s_or_b64 vcc, s[0:1], vcc
	v_addc_co_u32_e32 v4, vcc, 0, v4, vcc
	v_cmp_gt_i32_e32 vcc, 31, v6
	v_cndmask_b32_e32 v9, v2, v4, vcc
	v_cmp_ne_u32_e32 vcc, 0, v3
	s_waitcnt lgkmcnt(0)
	v_lshrrev_b32_e32 v17, 16, v11
	v_cndmask_b32_e64 v16, 0, 1, vcc
	v_cmp_eq_u32_e32 vcc, s10, v6
	v_mul_f16_sdwa v6, v17, v14 dst_sel:DWORD dst_unused:UNUSED_PAD src0_sel:DWORD src1_sel:WORD_1
	v_lshl_or_b32 v16, v16, 9, v2
	v_fma_f16 v6, v11, v14, v6
	v_mad_u64_u32 v[3:4], s[0:1], s8, v7, 0
	v_cndmask_b32_e32 v16, v9, v16, vcc
	v_cvt_f32_f16_e32 v9, v6
	v_mad_u64_u32 v[6:7], s[0:1], s9, v7, v[4:5]
	v_lshrrev_b32_e32 v4, 16, v10
	v_cvt_f64_f32_e32 v[9:10], v9
	v_and_or_b32 v16, v4, s11, v16
	v_mov_b32_e32 v4, v6
	v_lshlrev_b64 v[3:4], 2, v[3:4]
	v_mul_f64 v[6:7], v[9:10], s[14:15]
	v_and_b32_e32 v15, 0xffff, v15
	v_add_co_u32_e32 v3, vcc, v0, v3
	v_lshl_or_b32 v9, v16, 16, v15
	v_addc_co_u32_e32 v4, vcc, v1, v4, vcc
	global_store_dword v[3:4], v9, off
	v_and_or_b32 v3, v7, s16, v6
	v_cmp_ne_u32_e32 vcc, 0, v3
	v_cndmask_b32_e64 v3, 0, 1, vcc
	v_lshrrev_b32_e32 v4, 8, v7
	v_and_or_b32 v6, v4, s17, v3
	v_bfe_u32 v4, v7, 20, 11
	v_sub_u32_e32 v9, 0x3f1, v4
	v_or_b32_e32 v3, 0x1000, v6
	v_med3_i32 v9, v9, 0, 13
	v_lshrrev_b32_e32 v10, v9, v3
	v_lshlrev_b32_e32 v9, v9, v10
	v_cmp_ne_u32_e32 vcc, v9, v3
	v_cndmask_b32_e64 v3, 0, 1, vcc
	v_or_b32_e32 v3, v10, v3
	v_mul_f16_sdwa v10, v11, v14 dst_sel:DWORD dst_unused:UNUSED_PAD src0_sel:DWORD src1_sel:WORD_1
	v_fma_f16 v10, v14, v17, -v10
	v_add_u32_e32 v9, 0xfffffc10, v4
	v_cvt_f32_f16_e32 v10, v10
	v_lshl_or_b32 v4, v9, 12, v6
	v_cmp_gt_i32_e32 vcc, 1, v9
	v_cndmask_b32_e32 v3, v4, v3, vcc
	v_and_b32_e32 v4, 7, v3
	v_cmp_lt_i32_e32 vcc, 5, v4
	v_cmp_eq_u32_e64 s[0:1], 3, v4
	v_lshrrev_b32_e32 v11, 2, v3
	v_cvt_f64_f32_e32 v[3:4], v10
	s_or_b64 vcc, s[0:1], vcc
	v_addc_co_u32_e32 v10, vcc, 0, v11, vcc
	v_mul_f64 v[3:4], v[3:4], s[14:15]
	v_cmp_gt_i32_e32 vcc, 31, v9
	v_cndmask_b32_e32 v10, v2, v10, vcc
	v_cmp_ne_u32_e32 vcc, 0, v6
	v_cndmask_b32_e64 v6, 0, 1, vcc
	v_lshl_or_b32 v6, v6, 9, v2
	v_cmp_eq_u32_e32 vcc, s10, v9
	v_cndmask_b32_e32 v6, v10, v6, vcc
	v_and_or_b32 v3, v4, s16, v3
	v_lshrrev_b32_e32 v7, 16, v7
	v_cmp_ne_u32_e32 vcc, 0, v3
	v_and_or_b32 v9, v7, s11, v6
	v_cndmask_b32_e64 v3, 0, 1, vcc
	v_lshrrev_b32_e32 v6, 8, v4
	v_bfe_u32 v7, v4, 20, 11
	v_and_or_b32 v3, v6, s17, v3
	v_sub_u32_e32 v10, 0x3f1, v7
	v_or_b32_e32 v6, 0x1000, v3
	v_med3_i32 v10, v10, 0, 13
	v_lshrrev_b32_e32 v11, v10, v6
	v_lshlrev_b32_e32 v10, v10, v11
	v_cmp_ne_u32_e32 vcc, v10, v6
	v_cndmask_b32_e64 v6, 0, 1, vcc
	v_add_u32_e32 v10, 0xfffffc10, v7
	v_or_b32_e32 v6, v11, v6
	v_lshl_or_b32 v7, v10, 12, v3
	v_cmp_gt_i32_e32 vcc, 1, v10
	v_cndmask_b32_e32 v6, v7, v6, vcc
	v_and_b32_e32 v7, 7, v6
	v_cmp_lt_i32_e32 vcc, 5, v7
	v_cmp_eq_u32_e64 s[0:1], 3, v7
	v_lshrrev_b32_e32 v6, 2, v6
	s_or_b64 vcc, s[0:1], vcc
	v_addc_co_u32_e32 v6, vcc, 0, v6, vcc
	v_cmp_gt_i32_e32 vcc, 31, v10
	v_cndmask_b32_e32 v11, v2, v6, vcc
	v_cmp_ne_u32_e32 vcc, 0, v3
	v_mad_u64_u32 v[6:7], s[0:1], s8, v8, 0
	v_cndmask_b32_e64 v3, 0, 1, vcc
	v_lshl_or_b32 v3, v3, 9, v2
	v_cmp_eq_u32_e32 vcc, s10, v10
	v_cndmask_b32_e32 v10, v11, v3, vcc
	v_lshrrev_b32_e32 v11, 16, v12
	v_mov_b32_e32 v3, v7
	v_mul_f16_sdwa v7, v11, v13 dst_sel:DWORD dst_unused:UNUSED_PAD src0_sel:DWORD src1_sel:WORD_1
	v_fma_f16 v7, v12, v13, v7
	v_cvt_f32_f16_e32 v14, v7
	v_mad_u64_u32 v[7:8], s[0:1], s9, v8, v[3:4]
	v_lshrrev_b32_e32 v8, 16, v4
	v_cvt_f64_f32_e32 v[3:4], v14
	v_lshlrev_b64 v[6:7], 2, v[6:7]
	v_and_or_b32 v8, v8, s11, v10
	v_add_co_u32_e32 v6, vcc, v0, v6
	v_mul_f64 v[3:4], v[3:4], s[14:15]
	v_and_b32_e32 v9, 0xffff, v9
	v_addc_co_u32_e32 v7, vcc, v1, v7, vcc
	v_lshl_or_b32 v8, v8, 16, v9
	global_store_dword v[6:7], v8, off
	v_and_or_b32 v3, v4, s16, v3
	v_cmp_ne_u32_e32 vcc, 0, v3
	v_cndmask_b32_e64 v3, 0, 1, vcc
	v_lshrrev_b32_e32 v6, 8, v4
	v_bfe_u32 v7, v4, 20, 11
	v_and_or_b32 v3, v6, s17, v3
	v_sub_u32_e32 v8, 0x3f1, v7
	v_or_b32_e32 v6, 0x1000, v3
	v_med3_i32 v8, v8, 0, 13
	v_lshrrev_b32_e32 v9, v8, v6
	v_lshlrev_b32_e32 v8, v8, v9
	v_cmp_ne_u32_e32 vcc, v8, v6
	v_cndmask_b32_e64 v6, 0, 1, vcc
	v_or_b32_e32 v6, v9, v6
	v_mul_f16_sdwa v9, v12, v13 dst_sel:DWORD dst_unused:UNUSED_PAD src0_sel:DWORD src1_sel:WORD_1
	v_fma_f16 v9, v13, v11, -v9
	v_add_u32_e32 v8, 0xfffffc10, v7
	v_cvt_f32_f16_e32 v9, v9
	v_lshl_or_b32 v7, v8, 12, v3
	v_cmp_gt_i32_e32 vcc, 1, v8
	v_cndmask_b32_e32 v6, v7, v6, vcc
	v_and_b32_e32 v7, 7, v6
	v_cmp_lt_i32_e32 vcc, 5, v7
	v_cmp_eq_u32_e64 s[0:1], 3, v7
	v_lshrrev_b32_e32 v10, 2, v6
	v_cvt_f64_f32_e32 v[6:7], v9
	s_or_b64 vcc, s[0:1], vcc
	v_addc_co_u32_e32 v9, vcc, 0, v10, vcc
	v_mul_f64 v[6:7], v[6:7], s[14:15]
	v_cmp_gt_i32_e32 vcc, 31, v8
	v_cndmask_b32_e32 v9, v2, v9, vcc
	v_cmp_ne_u32_e32 vcc, 0, v3
	v_cndmask_b32_e64 v3, 0, 1, vcc
	v_lshl_or_b32 v3, v3, 9, v2
	v_cmp_eq_u32_e32 vcc, s10, v8
	v_cndmask_b32_e32 v3, v9, v3, vcc
	v_lshrrev_b32_e32 v4, 16, v4
	v_and_or_b32 v8, v4, s11, v3
	v_and_or_b32 v3, v7, s16, v6
	v_cmp_ne_u32_e32 vcc, 0, v3
	v_cndmask_b32_e64 v3, 0, 1, vcc
	v_lshrrev_b32_e32 v4, 8, v7
	v_and_or_b32 v6, v4, s17, v3
	v_bfe_u32 v4, v7, 20, 11
	v_sub_u32_e32 v9, 0x3f1, v4
	v_or_b32_e32 v3, 0x1000, v6
	v_med3_i32 v9, v9, 0, 13
	v_lshrrev_b32_e32 v10, v9, v3
	v_lshlrev_b32_e32 v9, v9, v10
	v_cmp_ne_u32_e32 vcc, v9, v3
	v_cndmask_b32_e64 v3, 0, 1, vcc
	v_add_u32_e32 v9, 0xfffffc10, v4
	v_or_b32_e32 v3, v10, v3
	v_lshl_or_b32 v4, v9, 12, v6
	v_cmp_gt_i32_e32 vcc, 1, v9
	v_cndmask_b32_e32 v3, v4, v3, vcc
	v_and_b32_e32 v4, 7, v3
	v_cmp_lt_i32_e32 vcc, 5, v4
	v_cmp_eq_u32_e64 s[0:1], 3, v4
	v_lshrrev_b32_e32 v3, 2, v3
	s_or_b64 vcc, s[0:1], vcc
	v_addc_co_u32_e32 v3, vcc, 0, v3, vcc
	v_cmp_gt_i32_e32 vcc, 31, v9
	v_cndmask_b32_e32 v10, v2, v3, vcc
	v_mad_u64_u32 v[3:4], s[0:1], s8, v5, 0
	v_cmp_ne_u32_e32 vcc, 0, v6
	v_cndmask_b32_e64 v6, 0, 1, vcc
	v_lshl_or_b32 v6, v6, 9, v2
	v_mov_b32_e32 v2, v4
	v_mad_u64_u32 v[4:5], s[0:1], s9, v5, v[2:3]
	v_cmp_eq_u32_e32 vcc, s10, v9
	v_cndmask_b32_e32 v2, v10, v6, vcc
	v_lshrrev_b32_e32 v5, 16, v7
	v_and_or_b32 v2, v5, s11, v2
	v_and_b32_e32 v5, 0xffff, v8
	v_lshl_or_b32 v5, v2, 16, v5
	v_lshlrev_b64 v[2:3], 2, v[3:4]
	v_add_co_u32_e32 v0, vcc, v0, v2
	v_addc_co_u32_e32 v1, vcc, v1, v3, vcc
	global_store_dword v[0:1], v5, off
.LBB0_15:
	s_endpgm
	.section	.rodata,"a",@progbits
	.p2align	6, 0x0
	.amdhsa_kernel bluestein_single_back_len1664_dim1_half_op_CI_CI
		.amdhsa_group_segment_fixed_size 6656
		.amdhsa_private_segment_fixed_size 0
		.amdhsa_kernarg_size 104
		.amdhsa_user_sgpr_count 6
		.amdhsa_user_sgpr_private_segment_buffer 1
		.amdhsa_user_sgpr_dispatch_ptr 0
		.amdhsa_user_sgpr_queue_ptr 0
		.amdhsa_user_sgpr_kernarg_segment_ptr 1
		.amdhsa_user_sgpr_dispatch_id 0
		.amdhsa_user_sgpr_flat_scratch_init 0
		.amdhsa_user_sgpr_private_segment_size 0
		.amdhsa_uses_dynamic_stack 0
		.amdhsa_system_sgpr_private_segment_wavefront_offset 0
		.amdhsa_system_sgpr_workgroup_id_x 1
		.amdhsa_system_sgpr_workgroup_id_y 0
		.amdhsa_system_sgpr_workgroup_id_z 0
		.amdhsa_system_sgpr_workgroup_info 0
		.amdhsa_system_vgpr_workitem_id 0
		.amdhsa_next_free_vgpr 153
		.amdhsa_next_free_sgpr 35
		.amdhsa_reserve_vcc 1
		.amdhsa_reserve_flat_scratch 0
		.amdhsa_float_round_mode_32 0
		.amdhsa_float_round_mode_16_64 0
		.amdhsa_float_denorm_mode_32 3
		.amdhsa_float_denorm_mode_16_64 3
		.amdhsa_dx10_clamp 1
		.amdhsa_ieee_mode 1
		.amdhsa_fp16_overflow 0
		.amdhsa_exception_fp_ieee_invalid_op 0
		.amdhsa_exception_fp_denorm_src 0
		.amdhsa_exception_fp_ieee_div_zero 0
		.amdhsa_exception_fp_ieee_overflow 0
		.amdhsa_exception_fp_ieee_underflow 0
		.amdhsa_exception_fp_ieee_inexact 0
		.amdhsa_exception_int_div_zero 0
	.end_amdhsa_kernel
	.text
.Lfunc_end0:
	.size	bluestein_single_back_len1664_dim1_half_op_CI_CI, .Lfunc_end0-bluestein_single_back_len1664_dim1_half_op_CI_CI
                                        ; -- End function
	.section	.AMDGPU.csdata,"",@progbits
; Kernel info:
; codeLenInByte = 21628
; NumSgprs: 39
; NumVgprs: 153
; ScratchSize: 0
; MemoryBound: 0
; FloatMode: 240
; IeeeMode: 1
; LDSByteSize: 6656 bytes/workgroup (compile time only)
; SGPRBlocks: 4
; VGPRBlocks: 38
; NumSGPRsForWavesPerEU: 39
; NumVGPRsForWavesPerEU: 153
; Occupancy: 1
; WaveLimiterHint : 1
; COMPUTE_PGM_RSRC2:SCRATCH_EN: 0
; COMPUTE_PGM_RSRC2:USER_SGPR: 6
; COMPUTE_PGM_RSRC2:TRAP_HANDLER: 0
; COMPUTE_PGM_RSRC2:TGID_X_EN: 1
; COMPUTE_PGM_RSRC2:TGID_Y_EN: 0
; COMPUTE_PGM_RSRC2:TGID_Z_EN: 0
; COMPUTE_PGM_RSRC2:TIDIG_COMP_CNT: 0
	.type	__hip_cuid_a4417ca8bc023fa6,@object ; @__hip_cuid_a4417ca8bc023fa6
	.section	.bss,"aw",@nobits
	.globl	__hip_cuid_a4417ca8bc023fa6
__hip_cuid_a4417ca8bc023fa6:
	.byte	0                               ; 0x0
	.size	__hip_cuid_a4417ca8bc023fa6, 1

	.ident	"AMD clang version 19.0.0git (https://github.com/RadeonOpenCompute/llvm-project roc-6.4.0 25133 c7fe45cf4b819c5991fe208aaa96edf142730f1d)"
	.section	".note.GNU-stack","",@progbits
	.addrsig
	.addrsig_sym __hip_cuid_a4417ca8bc023fa6
	.amdgpu_metadata
---
amdhsa.kernels:
  - .args:
      - .actual_access:  read_only
        .address_space:  global
        .offset:         0
        .size:           8
        .value_kind:     global_buffer
      - .actual_access:  read_only
        .address_space:  global
        .offset:         8
        .size:           8
        .value_kind:     global_buffer
      - .actual_access:  read_only
        .address_space:  global
        .offset:         16
        .size:           8
        .value_kind:     global_buffer
      - .actual_access:  read_only
        .address_space:  global
        .offset:         24
        .size:           8
        .value_kind:     global_buffer
      - .actual_access:  read_only
        .address_space:  global
        .offset:         32
        .size:           8
        .value_kind:     global_buffer
      - .offset:         40
        .size:           8
        .value_kind:     by_value
      - .address_space:  global
        .offset:         48
        .size:           8
        .value_kind:     global_buffer
      - .address_space:  global
        .offset:         56
        .size:           8
        .value_kind:     global_buffer
      - .address_space:  global
        .offset:         64
        .size:           8
        .value_kind:     global_buffer
      - .address_space:  global
        .offset:         72
        .size:           8
        .value_kind:     global_buffer
      - .offset:         80
        .size:           4
        .value_kind:     by_value
      - .address_space:  global
        .offset:         88
        .size:           8
        .value_kind:     global_buffer
      - .address_space:  global
        .offset:         96
        .size:           8
        .value_kind:     global_buffer
    .group_segment_fixed_size: 6656
    .kernarg_segment_align: 8
    .kernarg_segment_size: 104
    .language:       OpenCL C
    .language_version:
      - 2
      - 0
    .max_flat_workgroup_size: 208
    .name:           bluestein_single_back_len1664_dim1_half_op_CI_CI
    .private_segment_fixed_size: 0
    .sgpr_count:     39
    .sgpr_spill_count: 0
    .symbol:         bluestein_single_back_len1664_dim1_half_op_CI_CI.kd
    .uniform_work_group_size: 1
    .uses_dynamic_stack: false
    .vgpr_count:     153
    .vgpr_spill_count: 0
    .wavefront_size: 64
amdhsa.target:   amdgcn-amd-amdhsa--gfx906
amdhsa.version:
  - 1
  - 2
...

	.end_amdgpu_metadata
